;; amdgpu-corpus repo=ROCm/rocFFT kind=compiled arch=gfx1100 opt=O3
	.text
	.amdgcn_target "amdgcn-amd-amdhsa--gfx1100"
	.amdhsa_code_object_version 6
	.protected	bluestein_single_fwd_len2028_dim1_half_op_CI_CI ; -- Begin function bluestein_single_fwd_len2028_dim1_half_op_CI_CI
	.globl	bluestein_single_fwd_len2028_dim1_half_op_CI_CI
	.p2align	8
	.type	bluestein_single_fwd_len2028_dim1_half_op_CI_CI,@function
bluestein_single_fwd_len2028_dim1_half_op_CI_CI: ; @bluestein_single_fwd_len2028_dim1_half_op_CI_CI
; %bb.0:
	s_load_b128 s[16:19], s[0:1], 0x28
	v_mul_u32_u24_e32 v1, 0x1a5, v0
	s_mov_b32 s2, exec_lo
	v_mov_b32_e32 v25, 0
	s_delay_alu instid0(VALU_DEP_2) | instskip(NEXT) | instid1(VALU_DEP_1)
	v_lshrrev_b32_e32 v1, 16, v1
	v_add_nc_u32_e32 v24, s15, v1
	s_waitcnt lgkmcnt(0)
	s_delay_alu instid0(VALU_DEP_1)
	v_cmpx_gt_u64_e64 s[16:17], v[24:25]
	s_cbranch_execz .LBB0_18
; %bb.1:
	s_clause 0x1
	s_load_b128 s[4:7], s[0:1], 0x18
	s_load_b128 s[8:11], s[0:1], 0x0
	v_mul_lo_u16 v1, 0x9c, v1
	s_delay_alu instid0(VALU_DEP_1) | instskip(NEXT) | instid1(VALU_DEP_1)
	v_sub_nc_u16 v12, v0, v1
	v_and_b32_e32 v67, 0xffff, v12
	s_delay_alu instid0(VALU_DEP_1)
	v_lshlrev_b32_e32 v47, 2, v67
	s_waitcnt lgkmcnt(0)
	s_load_b128 s[12:15], s[4:5], 0x0
	s_clause 0x6
	global_load_b32 v72, v47, s[8:9]
	global_load_b32 v70, v47, s[8:9] offset:624
	global_load_b32 v68, v47, s[8:9] offset:1248
	;; [unrolled: 1-line block ×6, first 2 shown]
	v_add_co_u32 v40, s2, s8, v47
	s_delay_alu instid0(VALU_DEP_1)
	v_add_co_ci_u32_e64 v41, null, s9, 0, s2
	v_add_nc_u32_e32 v13, 0xe00, v47
	v_add_nc_u32_e32 v18, 0x1800, v47
	;; [unrolled: 1-line block ×3, first 2 shown]
	s_waitcnt lgkmcnt(0)
	v_mad_u64_u32 v[0:1], null, s14, v24, 0
	v_mad_u64_u32 v[2:3], null, s12, v67, 0
	s_mul_i32 s2, s13, 0x270
	s_mul_hi_u32 s3, s12, 0x270
	s_mul_i32 s4, s12, 0x270
	s_add_i32 s3, s3, s2
	s_delay_alu instid0(VALU_DEP_1) | instskip(NEXT) | instid1(VALU_DEP_1)
	v_mad_u64_u32 v[4:5], null, s15, v24, v[1:2]
	v_mad_u64_u32 v[5:6], null, s13, v67, v[3:4]
	v_mov_b32_e32 v1, v4
	s_delay_alu instid0(VALU_DEP_1) | instskip(NEXT) | instid1(VALU_DEP_3)
	v_lshlrev_b64 v[0:1], 2, v[0:1]
	v_mov_b32_e32 v3, v5
	s_delay_alu instid0(VALU_DEP_2) | instskip(NEXT) | instid1(VALU_DEP_2)
	v_add_co_u32 v0, vcc_lo, s18, v0
	v_lshlrev_b64 v[2:3], 2, v[2:3]
	s_delay_alu instid0(VALU_DEP_4) | instskip(SKIP_2) | instid1(VALU_DEP_4)
	v_add_co_ci_u32_e32 v1, vcc_lo, s19, v1, vcc_lo
	v_add_co_u32 v25, vcc_lo, 0x1000, v40
	v_add_co_ci_u32_e32 v26, vcc_lo, 0, v41, vcc_lo
	v_add_co_u32 v0, vcc_lo, v0, v2
	s_delay_alu instid0(VALU_DEP_4)
	v_add_co_ci_u32_e32 v1, vcc_lo, v1, v3, vcc_lo
	global_load_b32 v4, v[0:1], off
	v_add_co_u32 v0, vcc_lo, v0, s4
	v_add_co_ci_u32_e32 v1, vcc_lo, s3, v1, vcc_lo
	s_clause 0x5
	global_load_b32 v58, v[25:26], off offset:272
	global_load_b32 v56, v[25:26], off offset:896
	;; [unrolled: 1-line block ×6, first 2 shown]
	v_add_co_u32 v2, vcc_lo, v0, s4
	v_add_co_ci_u32_e32 v3, vcc_lo, s3, v1, vcc_lo
	global_load_b32 v5, v[0:1], off
	v_add_co_u32 v0, vcc_lo, v2, s4
	v_add_co_ci_u32_e32 v1, vcc_lo, s3, v3, vcc_lo
	s_clause 0x1
	global_load_b32 v6, v[2:3], off
	global_load_b32 v7, v[0:1], off
	v_add_co_u32 v0, vcc_lo, v0, s4
	v_add_co_ci_u32_e32 v1, vcc_lo, s3, v1, vcc_lo
	s_delay_alu instid0(VALU_DEP_2) | instskip(NEXT) | instid1(VALU_DEP_2)
	v_add_co_u32 v2, vcc_lo, v0, s4
	v_add_co_ci_u32_e32 v3, vcc_lo, s3, v1, vcc_lo
	global_load_b32 v8, v[0:1], off
	v_add_co_u32 v0, vcc_lo, v2, s4
	v_add_co_ci_u32_e32 v1, vcc_lo, s3, v3, vcc_lo
	global_load_b32 v9, v[2:3], off
	global_load_b32 v11, v[0:1], off
	v_add_co_u32 v0, vcc_lo, v0, s4
	v_add_co_ci_u32_e32 v1, vcc_lo, s3, v1, vcc_lo
	s_delay_alu instid0(VALU_DEP_2) | instskip(NEXT) | instid1(VALU_DEP_2)
	v_add_co_u32 v2, vcc_lo, v0, s4
	v_add_co_ci_u32_e32 v3, vcc_lo, s3, v1, vcc_lo
	global_load_b32 v14, v[0:1], off
	v_add_co_u32 v0, vcc_lo, v2, s4
	v_add_co_ci_u32_e32 v1, vcc_lo, s3, v3, vcc_lo
	global_load_b32 v15, v[2:3], off
	;; [unrolled: 3-line block ×5, first 2 shown]
	global_load_b32 v1, v[2:3], off
	v_add_nc_u32_e32 v2, 0x900, v47
	v_add_nc_u32_e32 v3, 0x1200, v47
	s_load_b128 s[4:7], s[6:7], 0x0
	s_load_b64 s[2:3], s[0:1], 0x38
	v_cmp_gt_u16_e32 vcc_lo, 39, v12
	s_waitcnt vmcnt(25)
	v_lshrrev_b32_e32 v74, 16, v72
	s_waitcnt vmcnt(24)
	v_lshrrev_b32_e32 v73, 16, v70
	s_waitcnt vmcnt(23)
	v_lshrrev_b32_e32 v71, 16, v68
	s_waitcnt vmcnt(22)
	v_lshrrev_b32_e32 v69, 16, v65
	s_waitcnt vmcnt(21)
	v_lshrrev_b32_e32 v66, 16, v63
	s_waitcnt vmcnt(20)
	v_lshrrev_b32_e32 v64, 16, v61
	s_waitcnt vmcnt(19)
	v_lshrrev_b32_e32 v62, 16, v59
	s_waitcnt vmcnt(17)
	v_lshrrev_b32_e32 v60, 16, v58
	v_lshrrev_b32_e32 v19, 16, v4
	v_mul_f16_e32 v20, v74, v4
	s_waitcnt vmcnt(16)
	v_lshrrev_b32_e32 v57, 16, v56
	s_waitcnt vmcnt(15)
	v_lshrrev_b32_e32 v55, 16, v54
	;; [unrolled: 2-line block ×3, first 2 shown]
	v_mul_f16_e32 v21, v74, v19
	v_fma_f16 v19, v72, v19, -v20
	s_waitcnt vmcnt(13)
	v_lshrrev_b32_e32 v51, 16, v49
	s_waitcnt vmcnt(12)
	v_lshrrev_b32_e32 v50, 16, v48
	;; [unrolled: 2-line block ×3, first 2 shown]
	v_mul_f16_e32 v23, v73, v5
	v_fmac_f16_e32 v21, v72, v4
	s_delay_alu instid0(VALU_DEP_3)
	v_mul_f16_e32 v4, v73, v22
	s_waitcnt vmcnt(10)
	v_lshrrev_b32_e32 v20, 16, v6
	v_fma_f16 v22, v70, v22, -v23
	v_mul_f16_e32 v23, v71, v6
	v_pack_b32_f16 v19, v21, v19
	v_fmac_f16_e32 v4, v70, v5
	v_mul_f16_e32 v5, v71, v20
	s_waitcnt vmcnt(9)
	v_lshrrev_b32_e32 v21, 16, v7
	v_mul_f16_e32 v27, v69, v7
	v_fma_f16 v20, v68, v20, -v23
	v_pack_b32_f16 v4, v4, v22
	v_fmac_f16_e32 v5, v68, v6
	v_mul_f16_e32 v6, v69, v21
	s_waitcnt vmcnt(8)
	v_lshrrev_b32_e32 v22, 16, v8
	v_fma_f16 v21, v65, v21, -v27
	ds_store_2addr_b32 v47, v19, v4 offset1:156
	v_pack_b32_f16 v4, v5, v20
	v_fmac_f16_e32 v6, v65, v7
	v_mul_f16_e32 v5, v66, v22
	s_waitcnt vmcnt(7)
	v_lshrrev_b32_e32 v7, 16, v9
	v_mul_f16_e32 v23, v66, v8
	v_mul_f16_e32 v19, v64, v9
	v_pack_b32_f16 v6, v6, v21
	v_fmac_f16_e32 v5, v63, v8
	v_mul_f16_e32 v8, v64, v7
	v_fma_f16 v20, v63, v22, -v23
	v_fma_f16 v7, v61, v7, -v19
	s_waitcnt vmcnt(6)
	v_lshrrev_b32_e32 v19, 16, v11
	ds_store_2addr_b32 v10, v4, v6 offset0:56 offset1:212
	v_fmac_f16_e32 v8, v61, v9
	s_waitcnt vmcnt(5)
	v_lshrrev_b32_e32 v6, 16, v14
	v_mul_f16_e32 v21, v62, v11
	v_pack_b32_f16 v4, v5, v20
	v_mul_f16_e32 v5, v62, v19
	v_mul_f16_e32 v9, v60, v14
	v_pack_b32_f16 v7, v8, v7
	v_mul_f16_e32 v8, v60, v6
	v_fma_f16 v19, v59, v19, -v21
	v_fmac_f16_e32 v5, v59, v11
	v_fma_f16 v6, v58, v6, -v9
	s_waitcnt vmcnt(4)
	v_lshrrev_b32_e32 v9, 16, v15
	v_mul_f16_e32 v11, v57, v15
	v_fmac_f16_e32 v8, v58, v14
	s_waitcnt vmcnt(3)
	v_lshrrev_b32_e32 v14, 16, v16
	v_pack_b32_f16 v5, v5, v19
	v_mul_f16_e32 v19, v57, v9
	v_fma_f16 v9, v56, v9, -v11
	v_mul_f16_e32 v11, v55, v16
	v_pack_b32_f16 v6, v8, v6
	v_mul_f16_e32 v8, v55, v14
	v_fmac_f16_e32 v19, v56, v15
	s_waitcnt vmcnt(2)
	v_lshrrev_b32_e32 v15, 16, v17
	v_fma_f16 v11, v54, v14, -v11
	v_mul_f16_e32 v14, v53, v17
	v_fmac_f16_e32 v8, v54, v16
	s_waitcnt vmcnt(1)
	v_lshrrev_b32_e32 v16, 16, v0
	s_waitcnt vmcnt(0)
	v_lshrrev_b32_e32 v21, 16, v1
	v_mul_f16_e32 v20, v53, v15
	v_fma_f16 v14, v52, v15, -v14
	v_mul_f16_e32 v15, v51, v0
	v_mul_f16_e32 v22, v51, v16
	;; [unrolled: 1-line block ×4, first 2 shown]
	v_fmac_f16_e32 v20, v52, v17
	v_fma_f16 v15, v49, v16, -v15
	v_fmac_f16_e32 v22, v49, v0
	v_fma_f16 v0, v48, v21, -v23
	v_fmac_f16_e32 v27, v48, v1
	v_pack_b32_f16 v1, v19, v9
	v_pack_b32_f16 v8, v8, v11
	;; [unrolled: 1-line block ×5, first 2 shown]
	ds_store_2addr_b32 v2, v4, v7 offset0:48 offset1:204
	ds_store_2addr_b32 v13, v5, v6 offset0:40 offset1:196
	;; [unrolled: 1-line block ×4, first 2 shown]
	ds_store_b32 v47, v0 offset:7488
	s_waitcnt lgkmcnt(0)
	s_barrier
	buffer_gl0_inv
	ds_load_2addr_b32 v[4:5], v47 offset1:156
	ds_load_b32 v11, v47 offset:7488
	ds_load_2addr_b32 v[8:9], v10 offset0:56 offset1:212
	ds_load_2addr_b32 v[0:1], v18 offset0:24 offset1:180
	;; [unrolled: 1-line block ×4, first 2 shown]
	v_mul_lo_u16 v15, v12, 13
	ds_load_2addr_b32 v[13:14], v13 offset0:40 offset1:196
	s_waitcnt lgkmcnt(0)
	s_barrier
	buffer_gl0_inv
	v_and_b32_e32 v15, 0xffff, v15
	s_delay_alu instid0(VALU_DEP_1)
	v_lshlrev_b32_e32 v39, 2, v15
	v_pk_add_f16 v15, v4, v5
	v_pk_add_f16 v16, v11, v5
	v_pk_add_f16 v5, v5, v11 neg_lo:[0,1] neg_hi:[0,1]
	v_pk_add_f16 v18, v1, v8
	v_pk_add_f16 v19, v8, v1 neg_lo:[0,1] neg_hi:[0,1]
	v_pk_add_f16 v8, v15, v8
	v_pk_add_f16 v20, v0, v9
	v_pk_add_f16 v21, v9, v0 neg_lo:[0,1] neg_hi:[0,1]
	v_pk_add_f16 v22, v3, v6
	v_pk_add_f16 v23, v6, v3 neg_lo:[0,1] neg_hi:[0,1]
	v_pk_add_f16 v8, v8, v9
	v_pk_add_f16 v27, v2, v7
	v_pk_add_f16 v28, v7, v2 neg_lo:[0,1] neg_hi:[0,1]
	v_lshrrev_b32_e32 v15, 16, v5
	v_pk_mul_f16 v29, 0x3b15388b, v16
	v_pk_add_f16 v6, v8, v6
	v_lshrrev_b32_e32 v30, 16, v16
	v_mul_f16_e32 v33, 0xba95, v5
	v_mul_f16_e32 v34, 0xbbf1, v5
	v_mul_f16_e32 v35, 0xbb7b, v5
	v_mul_f16_e32 v36, 0xb94e, v5
	v_lshrrev_b32_e32 v37, 16, v18
	v_mul_f16_e32 v38, 0xbb7b, v19
	v_mul_f16_e32 v42, 0xb3a8, v19
	v_mul_f16_e32 v43, 0x394e, v19
	v_mul_f16_e32 v44, 0x3bf1, v19
	;; [unrolled: 5-line block ×3, first 2 shown]
	v_lshrrev_b32_e32 v78, 16, v22
	v_mul_f16_e32 v79, 0x394e, v23
	v_mul_f16_e32 v80, 0x3770, v23
	v_pk_mul_f16 v81, 0xbbc4, v16 op_sel_hi:[0,1]
	v_mul_f16_e32 v82, 0xbbf1, v23
	v_mul_f16_e32 v83, 0x33a8, v23
	v_lshrrev_b32_e32 v84, 16, v27
	v_mul_f16_e32 v85, 0x3bf1, v28
	v_mul_f16_e32 v86, 0xba95, v28
	;; [unrolled: 1-line block ×4, first 2 shown]
	v_pk_mul_f16 v89, 0x388bb5ac, v18
	v_pk_mul_f16 v90, 0x3b15, v18 op_sel_hi:[0,1]
	v_lshrrev_b32_e32 v91, 16, v19
	v_mul_f16_e32 v9, 0xb770, v15
	v_pk_fma_f16 v107, 0xba95b770, v5, v29 op_sel:[0,0,1] op_sel_hi:[1,1,0] neg_lo:[0,1,0] neg_hi:[0,1,0]
	v_pk_fma_f16 v29, 0xba95b770, v5, v29 op_sel:[0,0,1] op_sel_hi:[1,1,0]
	v_mul_f16_e32 v109, 0xbbf1, v15
	v_mul_f16_e32 v111, 0xbb7b, v15
	;; [unrolled: 1-line block ×3, first 2 shown]
	v_pk_add_f16 v6, v6, v7
	v_lshrrev_b32_e32 v17, 16, v4
	v_lshrrev_b32_e32 v92, 16, v21
	v_pk_mul_f16 v93, 0x2fb7bbc4, v20
	v_fmamk_f16 v108, v30, 0x388b, v33
	v_fma_f16 v33, v30, 0x388b, -v33
	v_fmamk_f16 v110, v30, 0x2fb7, v34
	v_fma_f16 v34, v30, 0x2fb7, -v34
	;; [unrolled: 2-line block ×8, first 2 shown]
	v_pk_fma_f16 v44, 0xb3a8, v5, v81 op_sel:[0,0,1] op_sel_hi:[0,1,0] neg_lo:[0,1,0] neg_hi:[0,1,0]
	v_pk_fma_f16 v5, 0xb3a8, v5, v81 op_sel:[0,0,1] op_sel_hi:[0,1,0]
	v_fmamk_f16 v81, v45, 0xbbc4, v46
	v_fma_f16 v46, v45, 0xbbc4, -v46
	v_fmamk_f16 v117, v45, 0xb5ac, v75
	v_fma_f16 v75, v45, 0xb5ac, -v75
	;; [unrolled: 2-line block ×12, first 2 shown]
	v_pk_fma_f16 v88, 0xbb7bba95, v19, v89 op_sel:[0,0,1] op_sel_hi:[1,1,0] neg_lo:[0,1,0] neg_hi:[0,1,0]
	v_pk_fma_f16 v89, 0xbb7bba95, v19, v89 op_sel:[0,0,1] op_sel_hi:[1,1,0]
	v_pk_fma_f16 v126, 0x3770, v19, v90 op_sel:[0,0,1] op_sel_hi:[0,1,0] neg_lo:[0,1,0] neg_hi:[0,1,0]
	v_pk_fma_f16 v19, 0x3770, v19, v90 op_sel:[0,0,1] op_sel_hi:[0,1,0]
	v_mul_f16_e32 v90, 0xba95, v91
	v_mul_f16_e32 v127, 0xb3a8, v91
	v_mul_f16_e64 v128, 0x394e, v91
	v_mul_f16_e32 v91, 0x3bf1, v91
	v_fma_f16 v8, v16, 0x3b15, -v9
	v_fmac_f16_e32 v9, 0x3b15, v16
	v_fma_f16 v149, v16, 0x2fb7, -v109
	v_fmac_f16_e32 v109, 0x2fb7, v16
	;; [unrolled: 2-line block ×4, first 2 shown]
	v_bfi_b32 v16, 0xffff, v29, v107
	v_pk_add_f16 v6, v6, v13
	v_lshrrev_b32_e32 v94, 16, v23
	v_pk_mul_f16 v95, 0xb5acb9fd, v22
	v_mul_f16_e64 v129, 0xbbf1, v92
	v_pk_fma_f16 v130, 0xb3a8bbf1, v21, v93 op_sel:[0,0,1] op_sel_hi:[1,1,0]
	v_pk_fma_f16 v93, 0xb3a8bbf1, v21, v93 op_sel:[0,0,1] op_sel_hi:[1,1,0] neg_lo:[0,1,0] neg_hi:[0,1,0]
	v_mul_f16_e64 v131, 0x3b7b, v92
	v_mul_f16_e64 v132, 0x3770, v92
	v_mul_f16_e32 v92, 0xba95, v92
	v_fma_f16 v152, v18, 0x388b, -v90
	v_fmac_f16_e32 v90, 0x388b, v18
	v_fma_f16 v153, v18, 0xbbc4, -v127
	v_fmac_f16_e32 v127, 0xbbc4, v18
	v_fma_f16 v154, v18, 0xb9fd, -v128
	v_fmac_f16_e64 v128, 0xb9fd, v18
	v_fma_f16 v155, v18, 0x2fb7, -v91
	v_fmac_f16_e32 v91, 0x2fb7, v18
	v_add_f16_e32 v18, v17, v108
	v_add_f16_e32 v33, v17, v33
	;; [unrolled: 1-line block ×9, first 2 shown]
	v_bfi_b32 v107, 0xffff, v89, v88
	v_add_f16_e32 v7, v4, v8
	v_add_f16_e32 v8, v4, v9
	v_pk_add_f16 v9, v4, v16 op_sel:[1,0] op_sel_hi:[0,1]
	v_add_f16_e64 v16, v4, v149
	v_add_f16_e32 v109, v4, v109
	v_add_f16_e64 v149, v4, v150
	v_add_f16_e32 v111, v4, v111
	v_add_f16_e64 v150, v4, v151
	v_pk_add_f16 v6, v6, v14
	v_pk_add_f16 v31, v14, v13
	v_pk_add_f16 v32, v13, v14 neg_lo:[0,1] neg_hi:[0,1]
	v_lshrrev_b32_e32 v96, 16, v28
	v_pk_mul_f16 v97, 0xb9fd2fb7, v27
	v_mul_f16_e64 v133, 0xbb7b, v94
	v_pk_fma_f16 v134, 0x394ebb7b, v23, v95 op_sel:[0,0,1] op_sel_hi:[1,1,0] neg_lo:[0,1,0] neg_hi:[0,1,0]
	v_pk_fma_f16 v95, 0x394ebb7b, v23, v95 op_sel:[0,0,1] op_sel_hi:[1,1,0]
	v_mul_f16_e64 v135, 0x3770, v94
	v_mul_f16_e64 v136, 0xbbf1, v94
	v_mul_f16_e32 v94, 0x33a8, v94
	v_pk_add_f16 v29, v4, v29 op_sel:[1,0] op_sel_hi:[0,1]
	v_pk_add_f16 v44, v4, v44 op_sel:[1,0] op_sel_hi:[0,1]
	;; [unrolled: 1-line block ×3, first 2 shown]
	v_fma_f16 v113, v20, 0x2fb7, -v129
	v_fmac_f16_e64 v129, 0x2fb7, v20
	v_bfi_b32 v156, 0xffff, v130, v93
	v_fma_f16 v157, v20, 0xb5ac, -v131
	v_fmac_f16_e64 v131, 0xb5ac, v20
	v_fma_f16 v158, v20, 0x3b15, -v132
	v_fmac_f16_e64 v132, 0x3b15, v20
	v_fma_f16 v159, v20, 0x388b, -v92
	v_add_f16_e32 v4, v4, v15
	v_add_f16_e32 v15, v36, v18
	;; [unrolled: 1-line block ×8, first 2 shown]
	v_add_f16_e64 v7, v152, v7
	v_add_f16_e32 v8, v90, v8
	v_pk_add_f16 v9, v107, v9
	v_add_f16_e64 v13, v153, v16
	v_add_f16_e32 v16, v127, v109
	v_add_f16_e64 v37, v154, v149
	v_add_f16_e64 v42, v128, v111
	;; [unrolled: 1-line block ×3, first 2 shown]
	v_pk_add_f16 v2, v6, v2
	v_lshrrev_b32_e32 v98, 16, v32
	v_pk_mul_f16 v99, 0xbbc43b15, v31
	v_lshrrev_b32_e32 v101, 16, v31
	v_mul_f16_e32 v102, 0x3770, v32
	v_mul_f16_e32 v104, 0x3a95, v32
	;; [unrolled: 1-line block ×3, first 2 shown]
	v_pk_mul_f16 v106, 0xb9fd, v20 op_sel_hi:[0,1]
	v_mul_f16_e64 v137, 0xb94e, v96
	v_pk_fma_f16 v138, 0x3bf1b94e, v28, v97 op_sel:[0,0,1] op_sel_hi:[1,1,0] neg_lo:[0,1,0] neg_hi:[0,1,0]
	v_pk_fma_f16 v97, 0x3bf1b94e, v28, v97 op_sel:[0,0,1] op_sel_hi:[1,1,0]
	v_mul_f16_e64 v139, 0xba95, v96
	v_mul_f16_e64 v140, 0x33a8, v96
	v_mul_f16_e32 v96, 0x3770, v96
	v_fmac_f16_e32 v92, 0x388b, v20
	v_fma_f16 v20, v22, 0xb5ac, -v133
	v_fmac_f16_e64 v133, 0xb5ac, v22
	v_bfi_b32 v160, 0xffff, v95, v134
	v_fma_f16 v161, v22, 0x3b15, -v135
	v_fmac_f16_e64 v135, 0x3b15, v22
	v_fma_f16 v162, v22, 0x2fb7, -v136
	v_fmac_f16_e64 v136, 0x2fb7, v22
	v_fma_f16 v163, v22, 0xbbc4, -v94
	v_pk_add_f16 v29, v89, v29
	v_add_f16_e32 v18, v46, v18
	v_add_f16_e32 v33, v117, v33
	;; [unrolled: 1-line block ×4, first 2 shown]
	v_add_f16_e64 v8, v129, v8
	v_pk_add_f16 v9, v156, v9
	v_add_f16_e64 v13, v157, v13
	v_add_f16_e64 v14, v131, v16
	;; [unrolled: 1-line block ×5, first 2 shown]
	v_pk_add_f16 v2, v2, v3
	v_mul_f16_e64 v141, 0xb3a8, v98
	v_pk_fma_f16 v142, 0x3770b3a8, v32, v99 op_sel:[0,0,1] op_sel_hi:[1,1,0] neg_lo:[0,1,0] neg_hi:[0,1,0]
	v_pk_fma_f16 v143, 0x3770b3a8, v32, v99 op_sel:[0,0,1] op_sel_hi:[1,1,0]
	v_fma_f16 v144, 0x3b15, v101, v102
	v_fma_f16 v102, v101, 0x3b15, -v102
	v_mul_f16_e64 v145, 0xb94e, v98
	v_fma_f16 v146, 0x388b, v101, v104
	v_fma_f16 v104, v101, 0x388b, -v104
	v_fma_f16 v147, 0xb5ac, v101, v105
	v_fma_f16 v105, v101, 0xb5ac, -v105
	v_mul_f16_e32 v101, 0xb9fd, v101
	v_mul_f16_e64 v148, 0x3a95, v98
	v_mul_f16_e32 v98, 0xbb7b, v98
	v_fma_f16 v164, v27, 0xb9fd, -v137
	v_fmac_f16_e64 v137, 0xb9fd, v27
	v_bfi_b32 v165, 0xffff, v97, v138
	v_fma_f16 v166, v27, 0x388b, -v139
	v_fmac_f16_e64 v139, 0x388b, v27
	v_fma_f16 v167, v27, 0xbbc4, -v140
	v_fmac_f16_e64 v140, 0xbbc4, v27
	v_fma_f16 v168, v27, 0x3b15, -v96
	v_add_f16_e32 v30, v45, v30
	v_pk_add_f16 v29, v130, v29
	v_add_f16_e32 v18, v79, v18
	v_add_f16_e32 v33, v120, v33
	v_add_f16_e64 v17, v134, v17
	v_add_f16_e32 v6, v20, v7
	v_add_f16_e64 v7, v133, v8
	v_pk_add_f16 v8, v160, v9
	v_add_f16_e64 v9, v161, v13
	v_add_f16_e64 v13, v135, v14
	;; [unrolled: 1-line block ×5, first 2 shown]
	v_pk_add_f16 v0, v2, v0
	v_fma_f16 v169, v31, 0xbbc4, -v141
	v_fmac_f16_e64 v141, 0xbbc4, v31
	v_bfi_b32 v143, 0xffff, v143, v142
	v_fma_f16 v170, v31, 0xb9fd, -v145
	v_fma_f16 v171, 0xb94e, v32, v101
	v_fmac_f16_e64 v145, 0xb9fd, v31
	v_fma_f16 v172, v31, 0x388b, -v148
	v_fmac_f16_e64 v148, 0x388b, v31
	v_fma_f16 v173, v31, 0xb5ac, -v98
	v_add_f16_e32 v15, v81, v15
	v_add_f16_e32 v30, v78, v30
	v_pk_add_f16 v43, v95, v29
	v_add_f16_e32 v18, v85, v18
	v_add_f16_e32 v29, v123, v33
	v_add_f16_e64 v17, v138, v17
	v_add_f16_e64 v3, v164, v6
	;; [unrolled: 1-line block ×3, first 2 shown]
	v_pk_add_f16 v7, v165, v8
	v_add_f16_e64 v8, v166, v9
	v_add_f16_e64 v9, v139, v13
	;; [unrolled: 1-line block ×5, first 2 shown]
	v_pk_add_f16 v0, v0, v1
	v_add_f16_e32 v36, v115, v110
	v_add_f16_e32 v38, v116, v112
	;; [unrolled: 1-line block ×4, first 2 shown]
	v_add_f16_e64 v30, v142, v17
	v_add_f16_e32 v17, v102, v18
	v_add_f16_e64 v18, v171, v29
	v_add_f16_e64 v2, v169, v3
	;; [unrolled: 1-line block ×3, first 2 shown]
	v_pk_add_f16 v3, v143, v7
	v_add_f16_e64 v6, v170, v8
	v_add_f16_e64 v7, v145, v9
	;; [unrolled: 1-line block ×5, first 2 shown]
	v_pk_add_f16 v0, v0, v11
	v_pk_add_f16 v11, v126, v44
	;; [unrolled: 1-line block ×3, first 2 shown]
	v_pk_fma_f16 v13, 0xb94e, v21, v106 op_sel:[0,0,1] op_sel_hi:[0,1,0] neg_lo:[0,1,0] neg_hi:[0,1,0]
	v_pk_fma_f16 v14, 0xb94e, v21, v106 op_sel:[0,0,1] op_sel_hi:[0,1,0]
	v_pk_mul_f16 v16, 0x388b, v22 op_sel_hi:[0,1]
	v_add_f16_e32 v36, v118, v36
	v_add_f16_e32 v35, v76, v35
	;; [unrolled: 1-line block ×4, first 2 shown]
	v_pk_add_f16 v11, v13, v11
	v_pk_add_f16 v5, v14, v5
	v_pk_fma_f16 v13, 0x3a95, v23, v16 op_sel:[0,0,1] op_sel_hi:[0,1,0] neg_lo:[0,1,0] neg_hi:[0,1,0]
	v_pk_mul_f16 v14, 0xb5ac, v27 op_sel_hi:[0,1]
	v_add_f16_e32 v4, v91, v4
	v_mul_f16_e32 v103, 0xb94e, v32
	v_add_f16_e32 v34, v75, v34
	v_add_f16_e32 v36, v121, v36
	;; [unrolled: 1-line block ×4, first 2 shown]
	v_add_f16_e64 v15, v144, v15
	v_pk_fma_f16 v16, 0x3a95, v23, v16 op_sel:[0,0,1] op_sel_hi:[0,1,0]
	v_pk_add_f16 v11, v13, v11
	v_pk_fma_f16 v13, 0xbb7b, v28, v14 op_sel:[0,0,1] op_sel_hi:[0,1,0] neg_lo:[0,1,0] neg_hi:[0,1,0]
	v_fmac_f16_e32 v94, 0xbbc4, v22
	v_add_f16_e32 v4, v92, v4
	v_pk_mul_f16 v100, 0x3770b3a8, v32
	v_add_f16_e32 v34, v80, v34
	v_add_f16_e32 v33, v124, v36
	;; [unrolled: 1-line block ×4, first 2 shown]
	v_alignbit_b32 v15, v15, v3, 16
	v_pk_add_f16 v5, v16, v5
	v_pk_fma_f16 v14, 0xbb7b, v28, v14 op_sel:[0,0,1] op_sel_hi:[0,1,0]
	v_pk_mul_f16 v16, 0x2fb7, v31 op_sel_hi:[0,1]
	v_pack_b32_f16 v2, v2, v3
	v_pk_add_f16 v3, v13, v11
	v_bfi_b32 v11, 0xffff, v103, v43
	v_fmac_f16_e32 v96, 0x3b15, v27
	v_add_f16_e32 v4, v94, v4
	v_add_f16_e64 v20, v146, v33
	v_add_f16_e32 v33, v104, v35
	v_add_f16_e64 v35, v147, v36
	v_pk_add_f16 v5, v14, v5
	v_pk_fma_f16 v13, 0x3bf1, v32, v16 op_sel:[0,0,1] op_sel_hi:[0,1,0] neg_lo:[0,1,0] neg_hi:[0,1,0]
	v_pack_b32_f16 v14, v86, v99
	v_bfi_b32 v19, 0xffff, v34, v100
	v_pk_add_f16 v11, v101, v11 neg_lo:[0,1] neg_hi:[0,1]
	v_pk_add_f16 v21, v97, v43
	v_pk_fma_f16 v16, 0x3bf1, v32, v16 op_sel:[0,0,1] op_sel_hi:[0,1,0]
	v_fmac_f16_e32 v98, 0xb5ac, v31
	v_add_f16_e32 v4, v96, v4
	v_pack_b32_f16 v9, v9, v35
	v_pk_add_f16 v3, v13, v3
	v_pk_add_f16 v13, v14, v19
	v_bfi_b32 v11, 0xffff, v11, v21
	v_pk_add_f16 v5, v16, v5
	v_add_f16_e32 v36, v105, v37
	v_add_f16_e32 v4, v98, v4
	ds_store_2addr_b32 v39, v0, v9 offset1:5
	v_pk_add_f16 v0, v11, v13
	v_pack_b32_f16 v1, v1, v20
	v_pack_b32_f16 v6, v6, v18
	v_alignbit_b32 v9, v3, v5, 16
	v_alignbit_b32 v3, v5, v3, 16
	v_pack_b32_f16 v5, v8, v33
	v_pack_b32_f16 v4, v4, v36
	v_alignbit_b32 v8, v17, v0, 16
	v_pack_b32_f16 v0, v7, v0
	v_pack_b32_f16 v7, v29, v30
	ds_store_2addr_b32 v39, v2, v15 offset0:1 offset1:2
	ds_store_2addr_b32 v39, v6, v1 offset0:3 offset1:4
	;; [unrolled: 1-line block ×5, first 2 shown]
	ds_store_b32 v39, v7 offset:48
	v_add_nc_u32_e32 v4, 0xf00, v47
	v_add_nc_u32_e32 v5, 0x1400, v47
	;; [unrolled: 1-line block ×4, first 2 shown]
	s_waitcnt lgkmcnt(0)
	s_barrier
	buffer_gl0_inv
	ds_load_2addr_b32 v[0:1], v47 offset1:156
	ds_load_2addr_b32 v[2:3], v10 offset0:56 offset1:251
	ds_load_2addr_b32 v[10:11], v4 offset0:54 offset1:210
	;; [unrolled: 1-line block ×5, first 2 shown]
                                        ; implicit-def: $vgpr35
                                        ; implicit-def: $vgpr38
                                        ; implicit-def: $vgpr36
                                        ; implicit-def: $vgpr42
                                        ; implicit-def: $vgpr37
                                        ; implicit-def: $vgpr43
	s_and_saveexec_b32 s0, vcc_lo
	s_cbranch_execz .LBB0_3
; %bb.2:
	ds_load_b32 v29, v47 offset:1872
	ds_load_b32 v37, v47 offset:3900
	;; [unrolled: 1-line block ×4, first 2 shown]
	s_waitcnt lgkmcnt(3)
	v_lshrrev_b32_e32 v30, 16, v29
	s_waitcnt lgkmcnt(2)
	v_lshrrev_b32_e32 v43, 16, v37
	;; [unrolled: 2-line block ×4, first 2 shown]
.LBB0_3:
	s_or_b32 exec_lo, exec_lo, s0
	v_add_co_u32 v27, null, 0x9c, v67
	v_and_b32_e32 v12, 0xff, v67
	v_add_co_u32 v28, null, 0x138, v67
	s_delay_alu instid0(VALU_DEP_3) | instskip(SKIP_1) | instid1(VALU_DEP_4)
	v_and_b32_e32 v13, 0xffff, v27
	v_add_nc_u16 v31, v67, 0x1d4
	v_mul_lo_u16 v12, 0x4f, v12
	s_delay_alu instid0(VALU_DEP_4)
	v_and_b32_e32 v14, 0xffff, v28
	s_waitcnt lgkmcnt(4)
	v_lshrrev_b32_e32 v93, 16, v3
	v_mul_u32_u24_e32 v34, 0x4ec5, v13
	v_and_b32_e32 v15, 0xffff, v31
	v_lshrrev_b16 v44, 10, v12
	v_mul_u32_u24_e32 v33, 0x4ec5, v14
	s_waitcnt lgkmcnt(3)
	v_lshrrev_b32_e32 v94, 16, v10
	v_lshrrev_b32_e32 v45, 18, v34
	v_mul_u32_u24_e32 v32, 0x4ec5, v15
	v_mul_lo_u16 v12, v44, 13
	v_lshrrev_b32_e32 v46, 18, v33
	v_and_b32_e32 v44, 0xffff, v44
	v_mul_lo_u16 v13, v45, 13
	v_lshrrev_b32_e32 v75, 18, v32
	v_sub_nc_u16 v12, v67, v12
	v_mul_lo_u16 v14, v46, 13
	s_waitcnt lgkmcnt(2)
	v_lshrrev_b32_e32 v95, 16, v5
	v_sub_nc_u16 v78, v27, v13
	v_mul_lo_u16 v15, v75, 13
	v_and_b32_e32 v77, 0xff, v12
	v_sub_nc_u16 v79, v28, v14
	v_mul_u32_u24_e32 v44, 52, v44
	v_mul_lo_u16 v14, v78, 12
	v_sub_nc_u16 v76, v31, v15
	v_mad_u64_u32 v[12:13], null, v77, 12, s[10:11]
	v_mul_lo_u16 v15, v79, 12
	s_delay_alu instid0(VALU_DEP_4) | instskip(NEXT) | instid1(VALU_DEP_4)
	v_and_b32_e32 v14, 0xffff, v14
	v_mul_lo_u16 v16, v76, 12
	v_mad_u16 v45, v45, 52, v78
	v_mad_u16 v46, v46, 52, v79
	v_and_b32_e32 v15, 0xffff, v15
	global_load_b96 v[21:23], v[12:13], off
	v_add_co_u32 v12, s0, s10, v14
	v_and_b32_e32 v16, 0xffff, v16
	v_add_co_ci_u32_e64 v13, null, s11, 0, s0
	v_add_co_u32 v14, s0, s10, v15
	s_delay_alu instid0(VALU_DEP_1) | instskip(SKIP_2) | instid1(VALU_DEP_1)
	v_add_co_ci_u32_e64 v15, null, s11, 0, s0
	global_load_b96 v[18:20], v[12:13], off
	v_add_co_u32 v12, s0, s10, v16
	v_add_co_ci_u32_e64 v13, null, s11, 0, s0
	s_clause 0x1
	global_load_b96 v[15:17], v[14:15], off
	global_load_b96 v[12:14], v[12:13], off
	v_and_b32_e32 v45, 0xffff, v45
	v_and_b32_e32 v46, 0xffff, v46
	s_waitcnt lgkmcnt(1)
	v_lshrrev_b32_e32 v97, 16, v8
	v_lshrrev_b32_e32 v98, 16, v11
	s_waitcnt lgkmcnt(0)
	v_lshrrev_b32_e32 v99, 16, v6
	v_add_lshl_u32 v79, v44, v77, 2
	v_lshlrev_b32_e32 v78, 2, v45
	v_lshlrev_b32_e32 v77, 2, v46
	v_lshrrev_b32_e32 v101, 16, v9
	v_lshrrev_b32_e32 v102, 16, v4
	;; [unrolled: 1-line block ×6, first 2 shown]
	s_waitcnt vmcnt(0)
	s_barrier
	buffer_gl0_inv
	v_lshrrev_b32_e32 v91, 16, v21
	v_lshrrev_b32_e32 v90, 16, v22
	;; [unrolled: 1-line block ×3, first 2 shown]
	s_delay_alu instid0(VALU_DEP_3) | instskip(SKIP_1) | instid1(VALU_DEP_4)
	v_mul_f16_e32 v44, v93, v91
	v_mul_f16_e32 v45, v3, v91
	;; [unrolled: 1-line block ×6, first 2 shown]
	v_lshrrev_b32_e32 v89, 16, v18
	v_lshrrev_b32_e32 v87, 16, v19
	;; [unrolled: 1-line block ×3, first 2 shown]
	v_fma_f16 v3, v3, v21, -v44
	v_fmac_f16_e32 v45, v93, v21
	v_lshrrev_b32_e32 v85, 16, v15
	v_lshrrev_b32_e32 v84, 16, v16
	;; [unrolled: 1-line block ×6, first 2 shown]
	v_fma_f16 v10, v10, v22, -v46
	v_fmac_f16_e32 v104, v94, v22
	v_fma_f16 v5, v5, v23, -v105
	v_fmac_f16_e32 v106, v95, v23
	v_mul_f16_e32 v44, v97, v89
	v_mul_f16_e32 v46, v8, v89
	;; [unrolled: 1-line block ×18, first 2 shown]
	v_sub_f16_e32 v10, v0, v10
	v_sub_f16_e32 v104, v92, v104
	;; [unrolled: 1-line block ×4, first 2 shown]
	v_fma_f16 v8, v8, v18, -v44
	v_fmac_f16_e32 v46, v97, v18
	v_fma_f16 v11, v11, v19, -v93
	v_fmac_f16_e32 v94, v98, v19
	;; [unrolled: 2-line block ×9, first 2 shown]
	v_fma_f16 v0, v0, 2.0, -v10
	v_fma_f16 v38, v92, 2.0, -v104
	;; [unrolled: 1-line block ×4, first 2 shown]
	v_sub_f16_e32 v43, v10, v106
	v_add_f16_e32 v5, v104, v5
	v_sub_f16_e32 v11, v1, v11
	v_sub_f16_e32 v44, v96, v94
	;; [unrolled: 1-line block ×14, first 2 shown]
	v_fma_f16 v10, v10, 2.0, -v43
	v_fma_f16 v97, v104, 2.0, -v5
	v_pack_b32_f16 v5, v43, v5
	v_fma_f16 v1, v1, 2.0, -v11
	v_fma_f16 v98, v96, 2.0, -v44
	;; [unrolled: 1-line block ×4, first 2 shown]
	v_sub_f16_e32 v46, v11, v45
	v_fma_f16 v2, v2, 2.0, -v4
	v_fma_f16 v99, v100, 2.0, -v92
	;; [unrolled: 1-line block ×4, first 2 shown]
	v_add_f16_e32 v6, v44, v6
	v_fma_f16 v29, v29, 2.0, -v36
	v_fma_f16 v30, v30, 2.0, -v94
	;; [unrolled: 1-line block ×5, first 2 shown]
	v_pack_b32_f16 v10, v10, v97
	v_pack_b32_f16 v3, v3, v42
	v_sub_f16_e32 v8, v1, v8
	v_sub_f16_e32 v97, v98, v43
	;; [unrolled: 1-line block ×3, first 2 shown]
	v_add_f16_e32 v7, v92, v7
	v_sub_f16_e32 v9, v2, v9
	v_sub_f16_e32 v102, v99, v45
	;; [unrolled: 1-line block ×3, first 2 shown]
	v_add_f16_e32 v96, v94, v35
	v_fma_f16 v35, v38, 2.0, -v42
	v_fma_f16 v101, v44, 2.0, -v6
	v_sub_f16_e32 v42, v29, v37
	v_sub_f16_e32 v44, v30, v100
	v_fma_f16 v11, v11, 2.0, -v46
	ds_store_2addr_b32 v79, v3, v5 offset0:26 offset1:39
	v_fma_f16 v1, v1, 2.0, -v8
	v_fma_f16 v3, v98, 2.0, -v97
	;; [unrolled: 1-line block ×8, first 2 shown]
	v_pack_b32_f16 v0, v0, v35
	v_fma_f16 v37, v29, 2.0, -v42
	v_fma_f16 v38, v30, 2.0, -v44
	v_pack_b32_f16 v6, v46, v6
	v_pack_b32_f16 v8, v8, v97
	;; [unrolled: 1-line block ×8, first 2 shown]
	ds_store_2addr_b32 v79, v0, v10 offset1:13
	ds_store_2addr_b32 v78, v8, v6 offset0:26 offset1:39
	ds_store_2addr_b32 v78, v1, v11 offset1:13
	ds_store_2addr_b32 v77, v2, v4 offset1:13
	ds_store_2addr_b32 v77, v3, v7 offset0:26 offset1:39
	s_and_saveexec_b32 s0, vcc_lo
	s_cbranch_execz .LBB0_5
; %bb.4:
	v_mad_u16 v0, v75, 52, v76
	v_perm_b32 v1, v38, v37, 0x5040100
	v_perm_b32 v2, v45, v43, 0x5040100
	;; [unrolled: 1-line block ×4, first 2 shown]
	v_and_b32_e32 v0, 0xffff, v0
	s_delay_alu instid0(VALU_DEP_1)
	v_lshlrev_b32_e32 v0, 2, v0
	ds_store_2addr_b32 v0, v1, v2 offset1:13
	ds_store_2addr_b32 v0, v3, v4 offset0:26 offset1:39
.LBB0_5:
	s_or_b32 exec_lo, exec_lo, s0
	v_add_nc_u32_e32 v2, 0xa00, v47
	v_add_nc_u32_e32 v3, 0x1400, v47
	;; [unrolled: 1-line block ×5, first 2 shown]
	s_waitcnt lgkmcnt(0)
	s_barrier
	buffer_gl0_inv
	ds_load_2addr_b32 v[0:1], v47 offset1:156
	ds_load_2addr_b32 v[10:11], v2 offset0:36 offset1:192
	ds_load_2addr_b32 v[8:9], v3 offset0:72 offset1:228
	;; [unrolled: 1-line block ×4, first 2 shown]
	ds_load_2addr_b32 v[4:5], v29 offset1:156
	v_cmp_gt_u16_e64 s0, 52, v67
	s_delay_alu instid0(VALU_DEP_1)
	s_and_saveexec_b32 s1, s0
	s_cbranch_execz .LBB0_7
; %bb.6:
	ds_load_b32 v37, v47 offset:2496
	ds_load_b32 v43, v47 offset:5200
	;; [unrolled: 1-line block ×3, first 2 shown]
	s_waitcnt lgkmcnt(2)
	v_lshrrev_b32_e32 v38, 16, v37
	s_waitcnt lgkmcnt(1)
	v_lshrrev_b32_e32 v45, 16, v43
	;; [unrolled: 2-line block ×3, first 2 shown]
.LBB0_7:
	s_or_b32 exec_lo, exec_lo, s1
	v_and_b32_e32 v29, 0xff, v67
	v_lshrrev_b32_e32 v46, 20, v34
	v_lshrrev_b32_e32 v94, 20, v33
	;; [unrolled: 1-line block ×3, first 2 shown]
	v_add_nc_u32_e32 v99, 0x270, v67
	v_mul_lo_u16 v29, 0x4f, v29
	v_mul_lo_u16 v30, v46, 52
	;; [unrolled: 1-line block ×4, first 2 shown]
	s_waitcnt lgkmcnt(3)
	v_lshrrev_b32_e32 v106, 16, v8
	v_lshrrev_b16 v98, 12, v29
	v_sub_nc_u16 v100, v27, v30
	v_sub_nc_u16 v101, v28, v32
	v_and_b32_e32 v28, 0xffff, v99
	v_sub_nc_u16 v102, v31, v33
	v_mul_lo_u16 v27, v98, 52
	v_lshlrev_b16 v29, 3, v100
	v_lshlrev_b16 v30, 3, v101
	v_mul_u32_u24_e32 v103, 0x4ec5, v28
	v_lshlrev_b16 v31, 3, v102
	v_sub_nc_u16 v27, v67, v27
	v_and_b32_e32 v28, 0xffff, v29
	v_and_b32_e32 v29, 0xffff, v30
	v_mad_u16 v46, 0x9c, v46, v100
	v_and_b32_e32 v31, 0xffff, v31
	v_and_b32_e32 v104, 0xff, v27
	v_add_co_u32 v27, s1, s10, v28
	s_delay_alu instid0(VALU_DEP_1) | instskip(SKIP_1) | instid1(VALU_DEP_4)
	v_add_co_ci_u32_e64 v28, null, s11, 0, s1
	v_add_co_u32 v29, s1, s10, v29
	v_lshlrev_b32_e32 v32, 3, v104
	v_add_co_ci_u32_e64 v30, null, s11, 0, s1
	v_add_co_u32 v92, s1, s10, v31
	s_clause 0x2
	global_load_b64 v[35:36], v32, s[10:11] offset:156
	global_load_b64 v[33:34], v[27:28], off offset:156
	global_load_b64 v[31:32], v[29:30], off offset:156
	v_lshrrev_b32_e32 v27, 20, v103
	v_add_co_ci_u32_e64 v93, null, s11, 0, s1
	v_and_b32_e32 v46, 0xffff, v46
	s_waitcnt lgkmcnt(1)
	v_lshrrev_b32_e32 v112, 16, v6
	v_mul_lo_u16 v27, v27, 52
	global_load_b64 v[29:30], v[92:93], off offset:156
	s_waitcnt lgkmcnt(0)
	v_lshrrev_b32_e32 v120, 16, v4
	v_lshrrev_b32_e32 v108, 16, v11
	;; [unrolled: 1-line block ×3, first 2 shown]
	v_sub_nc_u16 v103, v99, v27
	v_lshrrev_b32_e32 v99, 16, v10
	v_lshrrev_b32_e32 v105, 16, v0
	;; [unrolled: 1-line block ×4, first 2 shown]
	v_lshlrev_b16 v27, 3, v103
	v_lshrrev_b32_e32 v123, 16, v3
	s_delay_alu instid0(VALU_DEP_2) | instskip(NEXT) | instid1(VALU_DEP_1)
	v_and_b32_e32 v27, 0xffff, v27
	v_add_co_u32 v27, s1, s10, v27
	s_delay_alu instid0(VALU_DEP_1)
	v_add_co_ci_u32_e64 v28, null, s11, 0, s1
	global_load_b64 v[27:28], v[27:28], off offset:156
	v_mad_u16 v92, 0x9c, v94, v101
	v_mad_u16 v93, 0x9c, v97, v102
	v_and_b32_e32 v94, 0xffff, v98
	v_lshrrev_b32_e32 v98, 16, v7
	v_lshrrev_b32_e32 v101, 16, v5
	v_and_b32_e32 v92, 0xffff, v92
	v_and_b32_e32 v97, 0xffff, v93
	v_mul_u32_u24_e32 v100, 0x9c, v94
	v_lshlrev_b32_e32 v94, 2, v46
	s_waitcnt vmcnt(0)
	v_lshlrev_b32_e32 v93, 2, v92
	v_lshlrev_b32_e32 v92, 2, v97
	v_add_lshl_u32 v97, v100, v104, 2
	s_barrier
	buffer_gl0_inv
	v_lshrrev_b32_e32 v117, 16, v33
	v_lshrrev_b32_e32 v119, 16, v35
	;; [unrolled: 1-line block ×6, first 2 shown]
	v_mul_f16_e32 v46, v99, v119
	v_mul_f16_e32 v100, v10, v119
	v_lshrrev_b32_e32 v113, 16, v29
	v_lshrrev_b32_e32 v111, 16, v30
	v_mul_f16_e32 v102, v106, v118
	v_mul_f16_e32 v104, v8, v118
	;; [unrolled: 1-line block ×3, first 2 shown]
	v_mul_f16_e64 v131, v7, v113
	v_mul_f16_e32 v125, v9, v116
	v_mul_f16_e32 v126, v112, v115
	;; [unrolled: 1-line block ×3, first 2 shown]
	v_mul_f16_e64 v128, v120, v114
	v_mul_f16_e64 v129, v4, v114
	;; [unrolled: 1-line block ×5, first 2 shown]
	v_fma_f16 v10, v10, v35, -v46
	v_fmac_f16_e32 v100, v99, v35
	v_fma_f16 v8, v8, v36, -v102
	v_fmac_f16_e64 v131, v98, v29
	v_mul_f16_e32 v121, v108, v117
	v_mul_f16_e32 v124, v109, v116
	v_fmac_f16_e32 v104, v106, v36
	v_fmac_f16_e32 v122, v108, v33
	;; [unrolled: 1-line block ×3, first 2 shown]
	v_fma_f16 v6, v6, v31, -v126
	v_fmac_f16_e32 v127, v112, v31
	v_fma_f16 v46, v4, v32, -v128
	v_lshrrev_b32_e32 v99, 16, v27
	v_lshrrev_b32_e32 v98, 16, v28
	v_fmac_f16_e64 v129, v120, v32
	v_fma_f16 v7, v7, v29, -v130
	v_fma_f16 v102, v5, v30, -v132
	v_fmac_f16_e64 v133, v101, v30
	v_mul_f16_e32 v101, v45, v99
	v_mul_f16_e32 v5, v43, v99
	;; [unrolled: 1-line block ×4, first 2 shown]
	v_add_f16_e32 v109, v10, v8
	v_fma_f16 v11, v11, v33, -v121
	v_fma_f16 v9, v9, v34, -v124
	v_add_f16_e32 v108, v0, v10
	v_sub_f16_e32 v112, v100, v104
	v_add_f16_e32 v120, v105, v100
	v_add_f16_e32 v100, v100, v104
	v_sub_f16_e32 v126, v122, v125
	v_add_f16_e64 v128, v107, v122
	v_add_f16_e32 v122, v122, v125
	v_add_f16_e64 v130, v2, v6
	v_add_f16_e64 v132, v6, v46
	v_sub_f16_e64 v134, v127, v129
	v_add_f16_e64 v135, v110, v127
	v_add_f16_e64 v127, v127, v129
	v_sub_f16_e64 v136, v6, v46
	;; [unrolled: 3-line block ×4, first 2 shown]
	v_fma_f16 v7, v43, v27, -v101
	v_fmac_f16_e32 v5, v45, v27
	v_fma_f16 v6, v42, v28, -v106
	v_fmac_f16_e32 v4, v44, v28
	v_fma_f16 v0, -0.5, v109, v0
	v_add_f16_e32 v124, v11, v9
	v_sub_f16_e32 v10, v10, v8
	v_add_f16_e32 v121, v1, v11
	v_sub_f16_e32 v11, v11, v9
	v_fmac_f16_e32 v105, -0.5, v100
	v_fmac_f16_e32 v107, -0.5, v122
	v_fma_f16 v2, -0.5, v132, v2
	v_fmac_f16_e32 v110, -0.5, v127
	v_fmac_f16_e64 v3, -0.5, v138
	v_fmac_f16_e64 v123, -0.5, v131
	v_fmamk_f16 v101, v112, 0x3aee, v0
	v_fmac_f16_e32 v0, 0xbaee, v112
	v_add_f16_e32 v112, v7, v6
	v_add_f16_e32 v122, v5, v4
	v_fmac_f16_e32 v1, -0.5, v124
	v_add_f16_e32 v8, v108, v8
	v_add_f16_e32 v42, v120, v104
	;; [unrolled: 1-line block ×3, first 2 shown]
	v_add_f16_e64 v43, v128, v125
	v_add_f16_e64 v44, v130, v46
	;; [unrolled: 1-line block ×4, first 2 shown]
	v_fmamk_f16 v102, v10, 0xbaee, v105
	v_fmamk_f16 v104, v11, 0xbaee, v107
	v_fmac_f16_e32 v107, 0x3aee, v11
	v_fma_f16 v11, 0x3aee, v134, v2
	v_fma_f16 v106, 0xbaee, v136, v110
	;; [unrolled: 1-line block ×3, first 2 shown]
	v_fmac_f16_e64 v3, 0xbaee, v139
	v_fma_f16 v109, 0xbaee, v141, v123
	v_fmac_f16_e64 v123, 0x3aee, v141
	v_sub_f16_e32 v120, v5, v4
	v_sub_f16_e32 v125, v7, v6
	v_fma_f16 v121, -0.5, v112, v37
	v_fma_f16 v122, -0.5, v122, v38
	v_fmac_f16_e32 v105, 0x3aee, v10
	v_fmac_f16_e64 v2, 0xbaee, v134
	v_fmac_f16_e64 v110, 0x3aee, v136
	v_add_f16_e64 v100, v140, v133
	v_fmamk_f16 v10, v126, 0x3aee, v1
	v_fmac_f16_e32 v1, 0xbaee, v126
	v_pack_b32_f16 v8, v8, v42
	v_pack_b32_f16 v42, v44, v45
	;; [unrolled: 1-line block ×5, first 2 shown]
	v_fmamk_f16 v123, v120, 0x3aee, v121
	v_fmac_f16_e32 v121, 0xbaee, v120
	v_fmamk_f16 v124, v125, 0xbaee, v122
	v_fmac_f16_e32 v122, 0x3aee, v125
	v_and_b32_e32 v101, 0xffff, v103
	v_pack_b32_f16 v0, v0, v105
	v_pack_b32_f16 v2, v2, v110
	;; [unrolled: 1-line block ×7, first 2 shown]
	ds_store_2addr_b32 v97, v8, v44 offset1:52
	ds_store_b32 v97, v0 offset:416
	ds_store_2addr_b32 v94, v9, v10 offset1:52
	ds_store_b32 v94, v1 offset:416
	;; [unrolled: 2-line block ×4, first 2 shown]
	s_and_saveexec_b32 s1, s0
	s_cbranch_execz .LBB0_9
; %bb.8:
	v_add_f16_e32 v0, v38, v5
	v_add_f16_e32 v1, v37, v7
	v_lshlrev_b32_e32 v2, 2, v101
	v_perm_b32 v3, v124, v123, 0x5040100
	s_delay_alu instid0(VALU_DEP_4) | instskip(NEXT) | instid1(VALU_DEP_4)
	v_add_f16_e32 v0, v0, v4
	v_add_f16_e32 v1, v1, v6
	s_delay_alu instid0(VALU_DEP_4) | instskip(NEXT) | instid1(VALU_DEP_2)
	v_add_nc_u32_e32 v4, 0x1c00, v2
	v_pack_b32_f16 v0, v1, v0
	v_perm_b32 v1, v122, v121, 0x5040100
	ds_store_2addr_b32 v4, v0, v3 offset0:80 offset1:132
	ds_store_b32 v2, v1 offset:7904
.LBB0_9:
	s_or_b32 exec_lo, exec_lo, s1
	v_mad_u64_u32 v[8:9], null, v67, 48, s[10:11]
	s_waitcnt lgkmcnt(0)
	s_barrier
	buffer_gl0_inv
	v_add_nc_u32_e32 v42, 0x400, v47
	v_add_nc_u32_e32 v46, 0x900, v47
	;; [unrolled: 1-line block ×3, first 2 shown]
	s_clause 0x1
	global_load_b128 v[4:7], v[8:9], off offset:572
	global_load_b128 v[0:3], v[8:9], off offset:588
	ds_load_2addr_b32 v[10:11], v42 offset0:56 offset1:212
	ds_load_2addr_b32 v[37:38], v46 offset0:48 offset1:204
	;; [unrolled: 1-line block ×3, first 2 shown]
	s_waitcnt lgkmcnt(2)
	v_lshrrev_b32_e32 v120, 16, v11
	s_waitcnt lgkmcnt(1)
	v_lshrrev_b32_e32 v131, 16, v37
	;; [unrolled: 2-line block ×3, first 2 shown]
	v_lshrrev_b32_e32 v132, 16, v38
	v_lshrrev_b32_e32 v112, 16, v10
	;; [unrolled: 1-line block ×3, first 2 shown]
	s_waitcnt vmcnt(1)
	v_lshrrev_b32_e32 v106, 16, v6
	s_waitcnt vmcnt(0)
	v_lshrrev_b32_e32 v100, 16, v2
	v_lshrrev_b32_e32 v105, 16, v7
	;; [unrolled: 1-line block ×4, first 2 shown]
	v_mul_f16_e32 v107, v120, v106
	v_mul_f16_e64 v143, v11, v106
	v_mul_f16_e64 v108, v131, v105
	;; [unrolled: 1-line block ×4, first 2 shown]
	v_fma_f16 v144, v11, v6, -v107
	v_mul_f16_e64 v11, v148, v100
	v_mul_f16_e32 v126, v37, v105
	v_mul_f16_e32 v125, v38, v103
	v_fma_f16 v129, v37, v7, -v108
	v_fma_f16 v127, v38, v0, -v109
	;; [unrolled: 1-line block ×3, first 2 shown]
	v_add_nc_u32_e32 v44, 0x1200, v47
	v_lshrrev_b32_e32 v102, 16, v1
	v_mul_f16_e32 v104, v112, v110
	v_mul_f16_e64 v145, v10, v110
	v_lshrrev_b32_e32 v107, 16, v3
	ds_load_2addr_b32 v[37:38], v44 offset0:96 offset1:252
	v_mul_f16_e64 v138, v43, v102
	v_fma_f16 v146, v10, v5, -v104
	v_mul_f16_e64 v10, v147, v102
	v_fmac_f16_e64 v145, v112, v5
	v_fmac_f16_e64 v143, v120, v6
	;; [unrolled: 1-line block ×4, first 2 shown]
	v_fma_f16 v141, v43, v1, -v10
	v_fmac_f16_e64 v138, v147, v1
	v_fmac_f16_e64 v139, v148, v2
	s_waitcnt lgkmcnt(0)
	v_lshrrev_b32_e32 v149, 16, v37
	v_lshrrev_b32_e32 v150, 16, v38
	v_mul_f16_e64 v137, v37, v107
	s_delay_alu instid0(VALU_DEP_3) | instskip(NEXT) | instid1(VALU_DEP_2)
	v_mul_f16_e64 v10, v149, v107
	v_fmac_f16_e64 v137, v149, v3
	s_delay_alu instid0(VALU_DEP_2)
	v_fma_f16 v134, v37, v3, -v10
	global_load_b128 v[8:11], v[8:9], off offset:604
	s_waitcnt vmcnt(0)
	v_lshrrev_b32_e32 v108, 16, v8
	v_lshrrev_b32_e32 v109, 16, v9
	v_lshrrev_b32_e32 v112, 16, v11
	s_delay_alu instid0(VALU_DEP_3) | instskip(SKIP_1) | instid1(VALU_DEP_2)
	v_mul_f16_e64 v43, v150, v108
	v_mul_f16_e64 v135, v38, v108
	v_fma_f16 v133, v38, v8, -v43
	v_add_nc_u32_e32 v43, 0x1800, v47
	s_delay_alu instid0(VALU_DEP_3) | instskip(NEXT) | instid1(VALU_DEP_3)
	v_fmac_f16_e64 v135, v150, v8
	v_add_f16_e64 v173, v129, v133
	ds_load_2addr_b32 v[37:38], v43 offset0:24 offset1:180
	s_waitcnt lgkmcnt(0)
	v_lshrrev_b32_e32 v151, 16, v37
	v_mul_f16_e64 v140, v37, v109
	v_lshrrev_b32_e32 v152, 16, v38
	s_delay_alu instid0(VALU_DEP_3) | instskip(NEXT) | instid1(VALU_DEP_3)
	v_mul_f16_e64 v104, v151, v109
	v_fmac_f16_e64 v140, v151, v9
	s_delay_alu instid0(VALU_DEP_2) | instskip(SKIP_4) | instid1(VALU_DEP_3)
	v_fma_f16 v136, v37, v9, -v104
	ds_load_b32 v37, v47 offset:7488
	v_lshrrev_b32_e32 v104, 16, v10
	v_sub_f16_e64 v169, v143, v140
	v_add_f16_e64 v170, v144, v136
	v_mul_f16_e64 v128, v152, v104
	v_mul_f16_e64 v130, v38, v104
	s_delay_alu instid0(VALU_DEP_2) | instskip(NEXT) | instid1(VALU_DEP_2)
	v_fma_f16 v128, v38, v10, -v128
	v_fmac_f16_e64 v130, v152, v10
	s_waitcnt lgkmcnt(0)
	v_lshrrev_b32_e32 v38, 16, v37
	v_mul_f16_e64 v132, v37, v112
	s_delay_alu instid0(VALU_DEP_2) | instskip(NEXT) | instid1(VALU_DEP_2)
	v_mul_f16_e32 v120, v38, v112
	v_fmac_f16_e64 v132, v38, v11
	s_delay_alu instid0(VALU_DEP_2) | instskip(SKIP_4) | instid1(VALU_DEP_2)
	v_fma_f16 v131, v37, v11, -v120
	ds_load_2addr_b32 v[37:38], v47 offset1:156
	v_lshrrev_b32_e32 v120, 16, v4
	s_waitcnt lgkmcnt(0)
	v_lshrrev_b32_e32 v148, 16, v38
	v_mul_f16_e64 v147, v38, v120
	s_delay_alu instid0(VALU_DEP_1) | instskip(SKIP_1) | instid1(VALU_DEP_1)
	v_fmac_f16_e64 v147, v148, v4
	v_mul_f16_e64 v148, v148, v120
	v_fma_f16 v38, v38, v4, -v148
	s_delay_alu instid0(VALU_DEP_3) | instskip(NEXT) | instid1(VALU_DEP_2)
	v_sub_f16_e64 v148, v147, v132
	v_add_f16_e64 v150, v38, v131
	s_delay_alu instid0(VALU_DEP_2)
	v_mul_f16_e64 v152, 0xbbf1, v148
	v_mul_f16_e64 v149, 0xb770, v148
	v_mul_f16_e64 v151, 0xba95, v148
	v_mul_f16_e64 v153, 0xbb7b, v148
	v_mul_f16_e64 v154, 0xb94e, v148
	v_mul_f16_e64 v148, 0xb3a8, v148
	v_fma_f16 v157, v150, 0x2fb7, -v152
	v_fma_f16 v155, v150, 0x3b15, -v149
	v_fmac_f16_e64 v149, 0x3b15, v150
	v_fma_f16 v156, v150, 0x388b, -v151
	v_fmac_f16_e64 v151, 0x388b, v150
	v_fmac_f16_e64 v152, 0x2fb7, v150
	v_fma_f16 v158, v150, 0xb5ac, -v153
	v_fmac_f16_e64 v153, 0xb5ac, v150
	v_fma_f16 v159, v150, 0xb9fd, -v154
	;; [unrolled: 2-line block ×3, first 2 shown]
	v_fmac_f16_e64 v148, 0xbbc4, v150
	v_add_f16_e64 v163, v37, v157
	v_sub_f16_e64 v157, v145, v130
	v_add_f16_e64 v161, v37, v155
	v_add_f16_e64 v150, v37, v149
	;; [unrolled: 1-line block ×11, first 2 shown]
	v_lshrrev_b32_e32 v155, 16, v37
	v_add_f16_e64 v160, v37, v38
	v_add_f16_e64 v156, v146, v128
	v_mul_f16_e64 v37, 0xba95, v157
	v_sub_f16_e64 v165, v38, v131
	s_delay_alu instid0(VALU_DEP_4) | instskip(SKIP_1) | instid1(VALU_DEP_4)
	v_add_f16_e64 v160, v160, v146
	v_sub_f16_e64 v146, v146, v128
	v_fma_f16 v164, v156, 0x388b, -v37
	s_delay_alu instid0(VALU_DEP_4)
	v_mul_f16_e64 v166, 0xb770, v165
	v_fmac_f16_e64 v37, 0x388b, v156
	v_add_f16_e64 v160, v160, v144
	v_mul_f16_e64 v167, 0xba95, v146
	v_add_f16_e64 v161, v164, v161
	v_add_f16_e64 v164, v155, v147
	;; [unrolled: 1-line block ×3, first 2 shown]
	v_sub_f16_e64 v144, v144, v136
	v_add_f16_e64 v160, v160, v129
	v_sub_f16_e64 v129, v129, v133
	v_add_f16_e64 v164, v164, v145
	v_add_f16_e64 v145, v145, v130
	v_fma_f16 v38, 0x3b15, v147, v166
	v_add_f16_e64 v160, v160, v127
	v_mul_f16_e64 v195, 0x3bf1, v146
	v_add_f16_e64 v164, v164, v143
	v_fma_f16 v168, 0x388b, v145, v167
	v_add_f16_e64 v38, v155, v38
	v_add_f16_e64 v143, v143, v140
	v_add_f16_e64 v160, v160, v141
	v_fma_f16 v196, 0x2fb7, v145, v195
	v_add_f16_e64 v37, v37, v150
	v_add_f16_e64 v168, v168, v38
	v_mul_f16_e64 v38, 0xbbf1, v169
	s_delay_alu instid0(VALU_DEP_1) | instskip(SKIP_1) | instid1(VALU_DEP_2)
	v_fma_f16 v171, v170, 0x2fb7, -v38
	v_fmac_f16_e64 v38, 0x2fb7, v170
	v_add_f16_e64 v161, v171, v161
	v_mul_f16_e64 v171, 0xbbf1, v144
	s_delay_alu instid0(VALU_DEP_3) | instskip(NEXT) | instid1(VALU_DEP_2)
	v_add_f16_e32 v37, v38, v37
	v_fma_f16 v172, 0x2fb7, v143, v171
	s_delay_alu instid0(VALU_DEP_1)
	v_add_f16_e64 v168, v172, v168
	v_sub_f16_e64 v172, v141, v142
	v_add_f16_e64 v141, v141, v142
	v_add_f16_e64 v142, v160, v142
	;; [unrolled: 1-line block ×3, first 2 shown]
	v_sub_f16_e64 v164, v138, v139
	s_delay_alu instid0(VALU_DEP_2) | instskip(NEXT) | instid1(VALU_DEP_1)
	v_add_f16_e64 v160, v160, v125
	v_add_f16_e64 v160, v160, v138
	;; [unrolled: 1-line block ×3, first 2 shown]
	s_delay_alu instid0(VALU_DEP_2) | instskip(SKIP_2) | instid1(VALU_DEP_2)
	v_add_f16_e64 v139, v160, v139
	v_sub_f16_e64 v160, v126, v135
	v_add_f16_e64 v126, v126, v135
	v_mul_f16_e64 v174, 0xbb7b, v160
	s_delay_alu instid0(VALU_DEP_1) | instskip(SKIP_1) | instid1(VALU_DEP_2)
	v_fma_f16 v175, v173, 0xb5ac, -v174
	v_fmac_f16_e64 v174, 0xb5ac, v173
	v_add_f16_e64 v161, v175, v161
	v_mul_f16_e64 v175, 0xbb7b, v129
	s_delay_alu instid0(VALU_DEP_3) | instskip(NEXT) | instid1(VALU_DEP_2)
	v_add_f16_e64 v37, v174, v37
	v_fma_f16 v176, 0xb5ac, v126, v175
	s_delay_alu instid0(VALU_DEP_1)
	v_add_f16_e64 v168, v176, v168
	v_add_f16_e64 v176, v127, v134
	v_sub_f16_e64 v127, v127, v134
	v_add_f16_e64 v134, v142, v134
	v_sub_f16_e64 v142, v125, v137
	v_add_f16_e64 v125, v125, v137
	v_add_f16_e64 v137, v139, v137
	s_delay_alu instid0(VALU_DEP_4) | instskip(NEXT) | instid1(VALU_DEP_4)
	v_add_f16_e64 v133, v134, v133
	v_mul_f16_e64 v139, 0xb94e, v142
	s_delay_alu instid0(VALU_DEP_3) | instskip(SKIP_1) | instid1(VALU_DEP_4)
	v_add_f16_e64 v134, v137, v135
	v_mul_f16_e64 v135, 0xb94e, v127
	v_add_f16_e64 v133, v133, v136
	s_delay_alu instid0(VALU_DEP_4)
	v_fma_f16 v177, v176, 0xb9fd, -v139
	v_mul_f16_e64 v136, 0xb3a8, v164
	v_add_f16_e64 v134, v134, v140
	v_fma_f16 v137, 0xb9fd, v125, v135
	v_add_f16_e64 v128, v133, v128
	v_mul_f16_e64 v133, 0xb3a8, v172
	v_add_f16_e64 v161, v177, v161
	v_fma_f16 v140, v141, 0xbbc4, -v136
	v_add_f16_e64 v137, v137, v168
	v_add_f16_e64 v130, v134, v130
	v_fma_f16 v134, 0xbbc4, v138, v133
	v_add_f16_e64 v128, v128, v131
	v_add_f16_e64 v140, v140, v161
	v_mul_f16_e64 v161, 0xbbf1, v165
	v_add_f16_e64 v130, v130, v132
	v_add_f16_e64 v134, v134, v137
	v_fmac_f16_e64 v139, 0xb9fd, v176
	v_fmac_f16_e64 v136, 0xbbc4, v141
	s_delay_alu instid0(VALU_DEP_4) | instskip(NEXT) | instid1(VALU_DEP_4)
	v_pack_b32_f16 v128, v128, v130
	v_pack_b32_f16 v131, v140, v134
	v_mul_f16_e64 v134, 0xbb7b, v146
	v_add_f16_e64 v37, v139, v37
	ds_store_2addr_b32 v47, v128, v131 offset1:156
	v_mul_f16_e64 v131, 0xba95, v165
	v_fma_f16 v137, 0xb5ac, v145, v134
	v_mul_f16_e64 v128, 0xbb7b, v157
	v_fma_f16 v134, v145, 0xb5ac, -v134
	v_add_f16_e64 v37, v136, v37
	v_fma_f16 v132, 0x388b, v147, v131
	v_fma_f16 v131, v147, 0x388b, -v131
	v_fma_f16 v130, v156, 0xb5ac, -v128
	v_fmac_f16_e64 v128, 0xb5ac, v156
	v_mul_f16_e64 v136, 0x3bf1, v172
	v_add_f16_e64 v132, v155, v132
	v_add_f16_e64 v131, v155, v131
	;; [unrolled: 1-line block ×3, first 2 shown]
	v_fma_f16 v162, 0x2fb7, v147, v161
	v_add_f16_e64 v128, v128, v151
	v_add_f16_e64 v132, v137, v132
	v_mul_f16_e64 v137, 0xb3a8, v157
	v_add_f16_e64 v131, v134, v131
	v_add_f16_e64 v162, v155, v162
	s_delay_alu instid0(VALU_DEP_3) | instskip(SKIP_1) | instid1(VALU_DEP_2)
	v_fma_f16 v140, v156, 0xbbc4, -v137
	v_fmac_f16_e64 v137, 0xbbc4, v156
	v_add_f16_e64 v140, v140, v163
	v_mul_f16_e64 v163, 0xb3a8, v146
	s_delay_alu instid0(VALU_DEP_3) | instskip(NEXT) | instid1(VALU_DEP_2)
	v_add_f16_e64 v134, v137, v152
	v_fma_f16 v168, 0xbbc4, v145, v163
	v_fma_f16 v163, v145, 0xbbc4, -v163
	s_delay_alu instid0(VALU_DEP_2) | instskip(SKIP_1) | instid1(VALU_DEP_1)
	v_add_f16_e64 v162, v168, v162
	v_mul_f16_e64 v168, 0xb3a8, v169
	v_fma_f16 v177, v170, 0xbbc4, -v168
	v_fmac_f16_e64 v168, 0xbbc4, v170
	s_delay_alu instid0(VALU_DEP_2) | instskip(SKIP_1) | instid1(VALU_DEP_3)
	v_add_f16_e64 v130, v177, v130
	v_mul_f16_e64 v177, 0xb3a8, v144
	v_add_f16_e64 v128, v168, v128
	s_delay_alu instid0(VALU_DEP_2) | instskip(NEXT) | instid1(VALU_DEP_1)
	v_fma_f16 v178, 0xbbc4, v143, v177
	v_add_f16_e64 v132, v178, v132
	v_mul_f16_e64 v178, 0x3b7b, v169
	s_delay_alu instid0(VALU_DEP_1) | instskip(SKIP_1) | instid1(VALU_DEP_2)
	v_fma_f16 v179, v170, 0xb5ac, -v178
	v_fmac_f16_e64 v178, 0xb5ac, v170
	v_add_f16_e64 v140, v179, v140
	v_mul_f16_e64 v179, 0x3b7b, v144
	s_delay_alu instid0(VALU_DEP_1) | instskip(NEXT) | instid1(VALU_DEP_1)
	v_fma_f16 v180, 0xb5ac, v143, v179
	v_add_f16_e64 v162, v180, v162
	v_mul_f16_e64 v180, 0x394e, v160
	s_delay_alu instid0(VALU_DEP_1) | instskip(SKIP_1) | instid1(VALU_DEP_2)
	v_fma_f16 v181, v173, 0xb9fd, -v180
	v_fmac_f16_e64 v180, 0xb9fd, v173
	v_add_f16_e64 v130, v181, v130
	v_mul_f16_e64 v181, 0x394e, v129
	s_delay_alu instid0(VALU_DEP_3) | instskip(NEXT) | instid1(VALU_DEP_2)
	v_add_f16_e64 v128, v180, v128
	v_fma_f16 v182, 0xb9fd, v126, v181
	s_delay_alu instid0(VALU_DEP_1) | instskip(SKIP_1) | instid1(VALU_DEP_1)
	v_add_f16_e64 v132, v182, v132
	v_mul_f16_e64 v182, 0x3770, v160
	v_fma_f16 v183, v173, 0x3b15, -v182
	v_fmac_f16_e64 v182, 0x3b15, v173
	s_delay_alu instid0(VALU_DEP_2) | instskip(SKIP_1) | instid1(VALU_DEP_1)
	v_add_f16_e64 v140, v183, v140
	v_mul_f16_e64 v183, 0x3770, v129
	v_fma_f16 v184, 0x3b15, v126, v183
	s_delay_alu instid0(VALU_DEP_1) | instskip(SKIP_1) | instid1(VALU_DEP_1)
	v_add_f16_e64 v162, v184, v162
	v_mul_f16_e64 v184, 0x3bf1, v142
	v_fma_f16 v185, v176, 0x2fb7, -v184
	v_fmac_f16_e64 v184, 0x2fb7, v176
	s_delay_alu instid0(VALU_DEP_2) | instskip(SKIP_1) | instid1(VALU_DEP_3)
	v_add_f16_e64 v130, v185, v130
	v_mul_f16_e64 v185, 0x3bf1, v127
	v_add_f16_e64 v128, v184, v128
	s_delay_alu instid0(VALU_DEP_2) | instskip(NEXT) | instid1(VALU_DEP_1)
	v_fma_f16 v186, 0x2fb7, v125, v185
	v_add_f16_e64 v132, v186, v132
	v_mul_f16_e64 v186, 0xba95, v142
	s_delay_alu instid0(VALU_DEP_1) | instskip(SKIP_1) | instid1(VALU_DEP_2)
	v_fma_f16 v187, v176, 0x388b, -v186
	v_fmac_f16_e64 v186, 0x388b, v176
	v_add_f16_e64 v140, v187, v140
	v_mul_f16_e64 v187, 0xba95, v127
	s_delay_alu instid0(VALU_DEP_1) | instskip(NEXT) | instid1(VALU_DEP_1)
	v_fma_f16 v188, 0x388b, v125, v187
	v_add_f16_e64 v162, v188, v162
	v_mul_f16_e64 v188, 0x3770, v164
	s_delay_alu instid0(VALU_DEP_1) | instskip(SKIP_1) | instid1(VALU_DEP_2)
	v_fma_f16 v189, v141, 0x3b15, -v188
	v_fmac_f16_e64 v188, 0x3b15, v141
	v_add_f16_e64 v130, v189, v130
	v_mul_f16_e64 v189, 0x3770, v172
	s_delay_alu instid0(VALU_DEP_1) | instskip(NEXT) | instid1(VALU_DEP_1)
	v_fma_f16 v190, 0x3b15, v138, v189
	v_add_f16_e64 v132, v190, v132
	v_mul_f16_e64 v190, 0xb94e, v164
	s_delay_alu instid0(VALU_DEP_2) | instskip(NEXT) | instid1(VALU_DEP_2)
	v_pack_b32_f16 v130, v130, v132
	v_fma_f16 v191, v141, 0xb9fd, -v190
	v_fmac_f16_e64 v190, 0xb9fd, v141
	s_delay_alu instid0(VALU_DEP_2) | instskip(SKIP_1) | instid1(VALU_DEP_1)
	v_add_f16_e64 v140, v191, v140
	v_mul_f16_e64 v191, 0xb94e, v172
	v_fma_f16 v192, 0xb9fd, v138, v191
	s_delay_alu instid0(VALU_DEP_1) | instskip(NEXT) | instid1(VALU_DEP_1)
	v_add_f16_e64 v162, v192, v162
	v_pack_b32_f16 v132, v140, v162
	v_mul_f16_e64 v140, 0xbb7b, v165
	v_mul_f16_e64 v162, 0x394e, v146
	;; [unrolled: 1-line block ×3, first 2 shown]
	ds_store_2addr_b32 v42, v130, v132 offset0:56 offset1:212
	v_mul_f16_e64 v130, 0x394e, v157
	v_fma_f16 v192, 0xb9fd, v145, v162
	v_fma_f16 v162, v145, 0xb9fd, -v162
	s_delay_alu instid0(VALU_DEP_3) | instskip(SKIP_1) | instid1(VALU_DEP_2)
	v_fma_f16 v132, v156, 0xb9fd, -v130
	v_fmac_f16_e64 v130, 0xb9fd, v156
	v_add_f16_e64 v132, v132, v158
	v_fma_f16 v158, 0xb5ac, v147, v140
	v_fma_f16 v140, v147, 0xb5ac, -v140
	s_delay_alu instid0(VALU_DEP_4) | instskip(NEXT) | instid1(VALU_DEP_3)
	v_add_f16_e64 v130, v130, v153
	v_add_f16_e64 v158, v155, v158
	s_delay_alu instid0(VALU_DEP_3) | instskip(NEXT) | instid1(VALU_DEP_2)
	v_add_f16_e64 v140, v155, v140
	v_add_f16_e64 v158, v192, v158
	v_mul_f16_e64 v192, 0x3bf1, v157
	s_delay_alu instid0(VALU_DEP_3) | instskip(NEXT) | instid1(VALU_DEP_2)
	v_add_f16_e64 v140, v162, v140
	v_fma_f16 v193, v156, 0x2fb7, -v192
	v_fmac_f16_e64 v192, 0x2fb7, v156
	s_delay_alu instid0(VALU_DEP_2) | instskip(SKIP_1) | instid1(VALU_DEP_3)
	v_add_f16_e64 v159, v193, v159
	v_mul_f16_e64 v193, 0xb94e, v165
	v_add_f16_e64 v150, v192, v154
	s_delay_alu instid0(VALU_DEP_2) | instskip(NEXT) | instid1(VALU_DEP_1)
	v_fma_f16 v194, 0xb9fd, v147, v193
	v_add_f16_e64 v194, v155, v194
	s_delay_alu instid0(VALU_DEP_1) | instskip(SKIP_1) | instid1(VALU_DEP_1)
	v_add_f16_e64 v194, v196, v194
	v_mul_f16_e64 v196, 0x3770, v169
	v_fma_f16 v197, v170, 0x3b15, -v196
	v_fmac_f16_e64 v196, 0x3b15, v170
	s_delay_alu instid0(VALU_DEP_2) | instskip(SKIP_1) | instid1(VALU_DEP_3)
	v_add_f16_e64 v132, v197, v132
	v_mul_f16_e64 v197, 0x3770, v144
	v_add_f16_e64 v130, v196, v130
	s_delay_alu instid0(VALU_DEP_2) | instskip(NEXT) | instid1(VALU_DEP_1)
	v_fma_f16 v198, 0x3b15, v143, v197
	v_add_f16_e64 v158, v198, v158
	v_mul_f16_e64 v198, 0xba95, v169
	s_delay_alu instid0(VALU_DEP_1) | instskip(SKIP_1) | instid1(VALU_DEP_2)
	v_fma_f16 v199, v170, 0x388b, -v198
	v_fmac_f16_e64 v198, 0x388b, v170
	v_add_f16_e64 v159, v199, v159
	v_mul_f16_e64 v199, 0xba95, v144
	v_mul_f16_e64 v144, 0xb94e, v144
	s_delay_alu instid0(VALU_DEP_2) | instskip(NEXT) | instid1(VALU_DEP_1)
	v_fma_f16 v200, 0x388b, v143, v199
	v_add_f16_e64 v194, v200, v194
	v_mul_f16_e64 v200, 0xbbf1, v160
	s_delay_alu instid0(VALU_DEP_1) | instskip(SKIP_1) | instid1(VALU_DEP_2)
	v_fma_f16 v201, v173, 0x2fb7, -v200
	v_fmac_f16_e64 v200, 0x2fb7, v173
	v_add_f16_e64 v132, v201, v132
	v_mul_f16_e64 v201, 0xbbf1, v129
	s_delay_alu instid0(VALU_DEP_3) | instskip(NEXT) | instid1(VALU_DEP_2)
	v_add_f16_e64 v130, v200, v130
	v_fma_f16 v202, 0x2fb7, v126, v201
	s_delay_alu instid0(VALU_DEP_1) | instskip(SKIP_1) | instid1(VALU_DEP_1)
	v_add_f16_e64 v158, v202, v158
	v_mul_f16_e64 v202, 0x33a8, v160
	v_fma_f16 v203, v173, 0xbbc4, -v202
	v_fmac_f16_e64 v202, 0xbbc4, v173
	s_delay_alu instid0(VALU_DEP_2) | instskip(SKIP_2) | instid1(VALU_DEP_2)
	v_add_f16_e64 v159, v203, v159
	v_mul_f16_e64 v203, 0x33a8, v129
	v_mul_f16_e64 v129, 0x3a95, v129
	v_fma_f16 v204, 0xbbc4, v126, v203
	s_delay_alu instid0(VALU_DEP_1) | instskip(SKIP_1) | instid1(VALU_DEP_1)
	v_add_f16_e64 v194, v204, v194
	v_mul_f16_e64 v204, 0x33a8, v142
	v_fma_f16 v205, v176, 0xbbc4, -v204
	v_fmac_f16_e64 v204, 0xbbc4, v176
	s_delay_alu instid0(VALU_DEP_2) | instskip(SKIP_1) | instid1(VALU_DEP_3)
	v_add_f16_e64 v132, v205, v132
	v_mul_f16_e64 v205, 0x33a8, v127
	v_add_f16_e64 v130, v204, v130
	s_delay_alu instid0(VALU_DEP_2) | instskip(NEXT) | instid1(VALU_DEP_1)
	v_fma_f16 v206, 0xbbc4, v125, v205
	v_add_f16_e64 v158, v206, v158
	v_mul_f16_e64 v206, 0x3770, v142
	s_delay_alu instid0(VALU_DEP_1) | instskip(SKIP_1) | instid1(VALU_DEP_2)
	v_fma_f16 v207, v176, 0x3b15, -v206
	v_fmac_f16_e64 v206, 0x3b15, v176
	v_add_f16_e64 v159, v207, v159
	v_mul_f16_e64 v207, 0x3770, v127
	v_mul_f16_e32 v127, 0xbb7b, v127
	s_delay_alu instid0(VALU_DEP_2) | instskip(NEXT) | instid1(VALU_DEP_1)
	v_fma_f16 v208, 0x3b15, v125, v207
	v_add_f16_e64 v194, v208, v194
	v_mul_f16_e64 v208, 0x3a95, v164
	s_delay_alu instid0(VALU_DEP_1) | instskip(SKIP_1) | instid1(VALU_DEP_2)
	v_fma_f16 v209, v141, 0x388b, -v208
	v_fmac_f16_e64 v208, 0x388b, v141
	v_add_f16_e64 v132, v209, v132
	v_mul_f16_e64 v209, 0x3a95, v172
	s_delay_alu instid0(VALU_DEP_3) | instskip(NEXT) | instid1(VALU_DEP_2)
	v_add_f16_e64 v130, v208, v130
	v_fma_f16 v210, 0x388b, v138, v209
	s_delay_alu instid0(VALU_DEP_1) | instskip(SKIP_1) | instid1(VALU_DEP_2)
	v_add_f16_e64 v158, v210, v158
	v_mul_f16_e64 v210, 0xbb7b, v164
	v_pack_b32_f16 v132, v132, v158
	s_delay_alu instid0(VALU_DEP_2) | instskip(SKIP_1) | instid1(VALU_DEP_2)
	v_fma_f16 v211, v141, 0xb5ac, -v210
	v_fmac_f16_e64 v210, 0xb5ac, v141
	v_add_f16_e64 v159, v211, v159
	v_mul_f16_e64 v211, 0xbb7b, v172
	s_delay_alu instid0(VALU_DEP_1) | instskip(NEXT) | instid1(VALU_DEP_1)
	v_fma_f16 v212, 0xb5ac, v138, v211
	v_add_f16_e64 v194, v212, v194
	s_delay_alu instid0(VALU_DEP_1)
	v_pack_b32_f16 v158, v159, v194
	v_fma_f16 v159, v147, 0x2fb7, -v161
	v_fma_f16 v161, v147, 0xb9fd, -v193
	;; [unrolled: 1-line block ×3, first 2 shown]
	v_fma_f16 v194, 0xb9fd, v143, v144
	ds_store_2addr_b32 v46, v132, v158 offset0:48 offset1:204
	v_mul_f16_e64 v132, 0xb3a8, v165
	v_fma_f16 v158, v147, 0x3b15, -v166
	v_fma_f16 v166, v145, 0x2fb7, -v195
	v_fma_f16 v195, v126, 0xbbc4, -v203
	s_delay_alu instid0(VALU_DEP_4) | instskip(SKIP_2) | instid1(VALU_DEP_2)
	v_fma_f16 v165, 0xbbc4, v147, v132
	v_fma_f16 v132, v147, 0xbbc4, -v132
	v_mul_f16_e64 v147, 0x3770, v157
	v_add_f16_e64 v132, v155, v132
	s_delay_alu instid0(VALU_DEP_2)
	v_fma_f16 v157, v156, 0x3b15, -v147
	v_fmac_f16_e64 v147, 0x3b15, v156
	v_fma_f16 v156, v145, 0x388b, -v167
	v_fma_f16 v167, 0x3b15, v145, v146
	v_fma_f16 v145, v145, 0x3b15, -v146
	v_mul_f16_e64 v146, 0xb94e, v169
	v_add_f16_e64 v149, v157, v149
	v_add_f16_e64 v147, v147, v148
	s_delay_alu instid0(VALU_DEP_4) | instskip(NEXT) | instid1(VALU_DEP_4)
	v_add_f16_e64 v132, v145, v132
	v_fma_f16 v169, v170, 0xb9fd, -v146
	v_fmac_f16_e64 v146, 0xb9fd, v170
	v_fma_f16 v170, v143, 0x2fb7, -v171
	v_fma_f16 v171, v143, 0xbbc4, -v177
	;; [unrolled: 1-line block ×5, first 2 shown]
	v_mul_f16_e64 v144, 0x3a95, v160
	v_fma_f16 v197, 0x388b, v126, v129
	v_add_f16_e64 v148, v169, v149
	v_add_f16_e64 v146, v146, v147
	;; [unrolled: 1-line block ×3, first 2 shown]
	v_fma_f16 v160, v173, 0x388b, -v144
	v_fmac_f16_e64 v144, 0x388b, v173
	v_fma_f16 v173, v126, 0xb5ac, -v175
	v_fma_f16 v175, v126, 0xb9fd, -v181
	;; [unrolled: 1-line block ×5, first 2 shown]
	v_add_f16_e64 v129, v155, v158
	v_add_f16_e64 v158, v155, v159
	;; [unrolled: 1-line block ×7, first 2 shown]
	v_fma_f16 v132, v125, 0xb9fd, -v135
	v_add_f16_e64 v151, v166, v159
	v_add_f16_e64 v152, v167, v161
	v_add_f16_e64 v38, v170, v129
	v_add_f16_e64 v129, v171, v131
	v_add_f16_e64 v131, v178, v134
	v_add_f16_e64 v134, v177, v137
	v_add_f16_e64 v137, v179, v140
	v_add_f16_e64 v38, v173, v38
	v_add_f16_e64 v129, v175, v129
	v_add_f16_e64 v140, v198, v150
	v_add_f16_e64 v134, v181, v134
	v_add_f16_e64 v137, v183, v137
	v_add_f16_e64 v38, v132, v38
	v_fma_f16 v132, v125, 0x2fb7, -v185
	v_add_f16_e64 v140, v202, v140
	v_add_f16_e64 v131, v182, v131
	;; [unrolled: 1-line block ×5, first 2 shown]
	v_fma_f16 v132, v125, 0x388b, -v187
	v_add_f16_e64 v135, v206, v140
	v_fma_f16 v140, v125, 0x3b15, -v207
	v_add_f16_e64 v131, v186, v131
	v_add_f16_e64 v143, v195, v145
	;; [unrolled: 1-line block ×3, first 2 shown]
	v_fma_f16 v134, v125, 0xbbc4, -v205
	v_add_f16_e64 v145, v160, v148
	v_add_f16_e64 v147, v197, v149
	;; [unrolled: 1-line block ×5, first 2 shown]
	v_mul_f16_e64 v137, 0xbb7b, v142
	v_fma_f16 v142, 0xb5ac, v125, v127
	v_fma_f16 v125, v125, 0xb5ac, -v127
	v_add_f16_e64 v127, v140, v143
	v_fma_f16 v143, v138, 0xb5ac, -v211
	v_fma_f16 v139, v176, 0xb5ac, -v137
	v_fmac_f16_e64 v137, 0xb5ac, v176
	v_add_f16_e32 v125, v125, v126
	v_fma_f16 v126, v138, 0xbbc4, -v133
	v_add_f16_e64 v140, v142, v147
	v_add_f16_e64 v139, v139, v145
	;; [unrolled: 1-line block ×3, first 2 shown]
	v_fma_f16 v144, 0x2fb7, v138, v136
	v_add_f16_e32 v38, v126, v38
	v_add_f16_e64 v126, v188, v128
	v_fma_f16 v128, v138, 0x3b15, -v189
	v_fma_f16 v136, v138, 0x2fb7, -v136
	;; [unrolled: 1-line block ×3, first 2 shown]
	v_add_f16_e64 v127, v143, v127
	v_pack_b32_f16 v37, v37, v38
	v_add_f16_e64 v128, v128, v129
	v_add_f16_e64 v129, v190, v131
	v_mul_f16_e64 v131, 0x3bf1, v164
	v_add_f16_e64 v125, v136, v125
	v_add_f16_e64 v134, v142, v134
	v_pack_b32_f16 v127, v135, v127
	v_pack_b32_f16 v126, v126, v128
	v_fma_f16 v133, v141, 0x2fb7, -v131
	v_fmac_f16_e64 v131, 0x2fb7, v141
	v_fma_f16 v141, v138, 0xb9fd, -v191
	v_add_f16_e64 v138, v144, v140
	v_pack_b32_f16 v130, v130, v134
	v_add_f16_e64 v133, v133, v139
	v_add_f16_e64 v131, v131, v137
	v_add_f16_e64 v132, v141, v132
	s_delay_alu instid0(VALU_DEP_3) | instskip(NEXT) | instid1(VALU_DEP_3)
	v_pack_b32_f16 v133, v133, v138
	v_pack_b32_f16 v125, v131, v125
	s_delay_alu instid0(VALU_DEP_3)
	v_pack_b32_f16 v129, v129, v132
	ds_store_2addr_b32 v45, v133, v125 offset0:40 offset1:196
	ds_store_2addr_b32 v44, v127, v130 offset0:96 offset1:252
	;; [unrolled: 1-line block ×3, first 2 shown]
	ds_store_b32 v47, v37 offset:7488
	s_waitcnt lgkmcnt(0)
	s_barrier
	buffer_gl0_inv
	global_load_b32 v125, v[25:26], off offset:4016
	v_add_co_u32 v25, s1, 0x1fb0, v40
	s_delay_alu instid0(VALU_DEP_1)
	v_add_co_ci_u32_e64 v26, s1, 0, v41, s1
	s_clause 0x5
	global_load_b32 v126, v[25:26], off offset:624
	global_load_b32 v127, v[25:26], off offset:1248
	global_load_b32 v128, v[25:26], off offset:1872
	global_load_b32 v129, v[25:26], off offset:2496
	global_load_b32 v130, v[25:26], off offset:3120
	global_load_b32 v131, v[25:26], off offset:3744
	v_add_co_u32 v25, s1, 0x3000, v40
	s_delay_alu instid0(VALU_DEP_1)
	v_add_co_ci_u32_e64 v26, s1, 0, v41, s1
	ds_load_2addr_b32 v[37:38], v47 offset1:156
	global_load_b32 v40, v[25:26], off offset:192
	s_waitcnt lgkmcnt(0)
	v_lshrrev_b32_e32 v132, 16, v37
	s_waitcnt vmcnt(7)
	v_lshrrev_b32_e32 v41, 16, v125
	s_delay_alu instid0(VALU_DEP_1) | instskip(NEXT) | instid1(VALU_DEP_3)
	v_mul_f16_e64 v133, v37, v41
	v_mul_f16_e64 v41, v132, v41
	s_delay_alu instid0(VALU_DEP_2) | instskip(NEXT) | instid1(VALU_DEP_2)
	v_fmac_f16_e64 v133, v132, v125
	v_fma_f16 v37, v37, v125, -v41
	v_lshrrev_b32_e32 v41, 16, v38
	s_waitcnt vmcnt(6)
	v_lshrrev_b32_e32 v125, 16, v126
	s_delay_alu instid0(VALU_DEP_3) | instskip(NEXT) | instid1(VALU_DEP_2)
	v_pack_b32_f16 v37, v37, v133
	v_mul_f16_e64 v132, v41, v125
	v_mul_f16_e32 v125, v38, v125
	s_delay_alu instid0(VALU_DEP_2) | instskip(NEXT) | instid1(VALU_DEP_2)
	v_fma_f16 v38, v38, v126, -v132
	v_fmac_f16_e32 v125, v41, v126
	s_waitcnt vmcnt(5)
	v_lshrrev_b32_e32 v41, 16, v127
	s_delay_alu instid0(VALU_DEP_2)
	v_pack_b32_f16 v38, v38, v125
	ds_store_2addr_b32 v47, v37, v38 offset1:156
	ds_load_2addr_b32 v[37:38], v42 offset0:56 offset1:212
	s_waitcnt lgkmcnt(0)
	v_lshrrev_b32_e32 v125, 16, v37
	v_mul_f16_e32 v126, v37, v41
	s_delay_alu instid0(VALU_DEP_2) | instskip(NEXT) | instid1(VALU_DEP_2)
	v_mul_f16_e32 v41, v125, v41
	v_fmac_f16_e32 v126, v125, v127
	v_lshrrev_b32_e32 v125, 16, v38
	s_delay_alu instid0(VALU_DEP_3) | instskip(SKIP_2) | instid1(VALU_DEP_2)
	v_fma_f16 v41, v37, v127, -v41
	s_waitcnt vmcnt(4)
	v_lshrrev_b32_e32 v37, 16, v128
	v_pack_b32_f16 v41, v41, v126
	s_delay_alu instid0(VALU_DEP_2) | instskip(SKIP_1) | instid1(VALU_DEP_2)
	v_mul_f16_e32 v127, v125, v37
	v_mul_f16_e64 v132, v38, v37
	v_fma_f16 v127, v38, v128, -v127
	ds_load_2addr_b32 v[37:38], v46 offset0:48 offset1:204
	v_fmac_f16_e64 v132, v125, v128
	s_waitcnt vmcnt(3)
	v_lshrrev_b32_e32 v125, 16, v129
	s_delay_alu instid0(VALU_DEP_2) | instskip(SKIP_2) | instid1(VALU_DEP_3)
	v_pack_b32_f16 v126, v127, v132
	s_waitcnt lgkmcnt(0)
	v_lshrrev_b32_e32 v128, 16, v37
	v_mul_f16_e64 v133, v37, v125
	s_delay_alu instid0(VALU_DEP_2) | instskip(NEXT) | instid1(VALU_DEP_2)
	v_mul_f16_e64 v125, v128, v125
	v_fmac_f16_e64 v133, v128, v129
	v_lshrrev_b32_e32 v128, 16, v38
	s_delay_alu instid0(VALU_DEP_3) | instskip(SKIP_2) | instid1(VALU_DEP_2)
	v_fma_f16 v125, v37, v129, -v125
	s_waitcnt vmcnt(2)
	v_lshrrev_b32_e32 v37, 16, v130
	v_pack_b32_f16 v125, v125, v133
	s_delay_alu instid0(VALU_DEP_2) | instskip(SKIP_1) | instid1(VALU_DEP_2)
	v_mul_f16_e64 v129, v128, v37
	v_mul_f16_e64 v134, v38, v37
	v_fma_f16 v129, v38, v130, -v129
	ds_load_2addr_b32 v[37:38], v45 offset0:40 offset1:196
	v_fmac_f16_e64 v134, v128, v130
	s_waitcnt vmcnt(1)
	v_lshrrev_b32_e32 v128, 16, v131
	s_delay_alu instid0(VALU_DEP_2) | instskip(SKIP_2) | instid1(VALU_DEP_3)
	v_pack_b32_f16 v127, v129, v134
	s_waitcnt lgkmcnt(0)
	v_lshrrev_b32_e32 v130, 16, v37
	v_mul_f16_e64 v135, v37, v128
	s_delay_alu instid0(VALU_DEP_2) | instskip(NEXT) | instid1(VALU_DEP_2)
	v_mul_f16_e64 v128, v130, v128
	v_fmac_f16_e64 v135, v130, v131
	v_lshrrev_b32_e32 v130, 16, v38
	s_delay_alu instid0(VALU_DEP_3) | instskip(SKIP_2) | instid1(VALU_DEP_2)
	v_fma_f16 v37, v37, v131, -v128
	s_waitcnt vmcnt(0)
	v_lshrrev_b32_e32 v128, 16, v40
	v_pack_b32_f16 v37, v37, v135
	s_delay_alu instid0(VALU_DEP_2) | instskip(SKIP_1) | instid1(VALU_DEP_2)
	v_mul_f16_e64 v131, v130, v128
	v_mul_f16_e64 v128, v38, v128
	v_fma_f16 v38, v38, v40, -v131
	s_delay_alu instid0(VALU_DEP_2)
	v_fmac_f16_e64 v128, v130, v40
	s_clause 0x4
	global_load_b32 v40, v[25:26], off offset:816
	global_load_b32 v130, v[25:26], off offset:1440
	;; [unrolled: 1-line block ×5, first 2 shown]
	ds_load_2addr_b32 v[25:26], v44 offset0:96 offset1:252
	v_pack_b32_f16 v38, v38, v128
	s_waitcnt lgkmcnt(0)
	v_lshrrev_b32_e32 v139, 16, v25
	s_waitcnt vmcnt(4)
	v_lshrrev_b32_e32 v138, 16, v40
	s_delay_alu instid0(VALU_DEP_1) | instskip(NEXT) | instid1(VALU_DEP_3)
	v_mul_f16_e64 v140, v25, v138
	v_mul_f16_e64 v138, v139, v138
	s_delay_alu instid0(VALU_DEP_2) | instskip(NEXT) | instid1(VALU_DEP_2)
	v_fmac_f16_e64 v140, v139, v40
	v_fma_f16 v40, v25, v40, -v138
	s_waitcnt vmcnt(3)
	v_lshrrev_b32_e32 v25, 16, v130
	v_lshrrev_b32_e32 v138, 16, v26
	s_delay_alu instid0(VALU_DEP_3) | instskip(NEXT) | instid1(VALU_DEP_3)
	v_pack_b32_f16 v40, v40, v140
	v_mul_f16_e64 v141, v26, v25
	s_delay_alu instid0(VALU_DEP_3) | instskip(NEXT) | instid1(VALU_DEP_2)
	v_mul_f16_e64 v139, v138, v25
	v_fmac_f16_e64 v141, v138, v130
	s_delay_alu instid0(VALU_DEP_2)
	v_fma_f16 v139, v26, v130, -v139
	ds_load_2addr_b32 v[25:26], v43 offset0:24 offset1:180
	s_waitcnt vmcnt(2)
	v_lshrrev_b32_e32 v130, 16, v131
	v_pack_b32_f16 v128, v139, v141
	s_waitcnt lgkmcnt(0)
	v_lshrrev_b32_e32 v138, 16, v25
	s_delay_alu instid0(VALU_DEP_3) | instskip(NEXT) | instid1(VALU_DEP_2)
	v_mul_f16_e64 v142, v25, v130
	v_mul_f16_e64 v130, v138, v130
	s_delay_alu instid0(VALU_DEP_2) | instskip(NEXT) | instid1(VALU_DEP_2)
	v_fmac_f16_e64 v142, v138, v131
	v_fma_f16 v25, v25, v131, -v130
	s_waitcnt vmcnt(1)
	v_lshrrev_b32_e32 v130, 16, v136
	v_lshrrev_b32_e32 v131, 16, v26
	s_delay_alu instid0(VALU_DEP_3) | instskip(NEXT) | instid1(VALU_DEP_2)
	v_pack_b32_f16 v25, v25, v142
	v_mul_f16_e64 v138, v131, v130
	v_mul_f16_e64 v130, v26, v130
	s_delay_alu instid0(VALU_DEP_2) | instskip(NEXT) | instid1(VALU_DEP_2)
	v_fma_f16 v26, v26, v136, -v138
	v_fmac_f16_e64 v130, v131, v136
	ds_load_b32 v131, v47 offset:7488
	s_waitcnt vmcnt(0)
	v_lshrrev_b32_e32 v136, 16, v137
	v_pack_b32_f16 v26, v26, v130
	s_waitcnt lgkmcnt(0)
	v_lshrrev_b32_e32 v138, 16, v131
	s_delay_alu instid0(VALU_DEP_3) | instskip(NEXT) | instid1(VALU_DEP_2)
	v_mul_f16_e64 v143, v131, v136
	v_mul_f16_e64 v136, v138, v136
	s_delay_alu instid0(VALU_DEP_2) | instskip(NEXT) | instid1(VALU_DEP_2)
	v_fmac_f16_e64 v143, v138, v137
	v_fma_f16 v131, v131, v137, -v136
	s_delay_alu instid0(VALU_DEP_1)
	v_pack_b32_f16 v129, v131, v143
	ds_store_2addr_b32 v42, v41, v126 offset0:56 offset1:212
	ds_store_2addr_b32 v46, v125, v127 offset0:48 offset1:204
	;; [unrolled: 1-line block ×5, first 2 shown]
	ds_store_b32 v47, v129 offset:7488
	s_waitcnt lgkmcnt(0)
	s_barrier
	buffer_gl0_inv
	ds_load_2addr_b32 v[25:26], v47 offset1:156
	ds_load_2addr_b32 v[126:127], v42 offset0:56 offset1:212
	ds_load_2addr_b32 v[128:129], v46 offset0:48 offset1:204
	;; [unrolled: 1-line block ×5, first 2 shown]
	s_waitcnt lgkmcnt(5)
	v_pk_add_f16 v40, v25, v26
	v_lshrrev_b32_e32 v138, 16, v25
	s_waitcnt lgkmcnt(1)
	v_pk_add_f16 v44, v128, v131 neg_lo:[0,1] neg_hi:[0,1]
	s_delay_alu instid0(VALU_DEP_3)
	v_pk_add_f16 v40, v40, v126
	s_waitcnt lgkmcnt(0)
	v_pk_add_f16 v125, v132, v127
	v_pk_add_f16 v43, v130, v129
	v_pk_add_f16 v46, v133, v126
	v_pk_add_f16 v126, v126, v133 neg_lo:[0,1] neg_hi:[0,1]
	v_pk_add_f16 v40, v40, v127
	s_delay_alu instid0(VALU_DEP_2) | instskip(NEXT) | instid1(VALU_DEP_2)
	v_pk_mul_f16 v140, 0xba95, v126 op_sel_hi:[0,1]
	v_pk_add_f16 v40, v40, v128
	v_lshrrev_b32_e32 v146, 16, v126
	s_delay_alu instid0(VALU_DEP_3) | instskip(NEXT) | instid1(VALU_DEP_3)
	v_pk_fma_f16 v141, 0x388b, v46, v140 op_sel:[0,0,1] op_sel_hi:[0,1,0]
	v_pk_add_f16 v40, v40, v129
	v_pk_fma_f16 v140, 0x388b, v46, v140 op_sel:[0,0,1] op_sel_hi:[0,1,0] neg_lo:[0,0,1] neg_hi:[0,0,1]
	s_delay_alu instid0(VALU_DEP_4) | instskip(NEXT) | instid1(VALU_DEP_3)
	v_mul_f16_e64 v147, 0xbb7b, v146
	v_pk_add_f16 v40, v40, v37
	s_delay_alu instid0(VALU_DEP_3) | instskip(NEXT) | instid1(VALU_DEP_3)
	v_bfi_b32 v143, 0xffff, v141, v140
	v_fma_f16 v148, 0xb5ac, v46, v147
	v_fma_f16 v147, v46, 0xb5ac, -v147
	s_delay_alu instid0(VALU_DEP_4) | instskip(SKIP_1) | instid1(VALU_DEP_2)
	v_pk_add_f16 v41, v40, v38
	v_pk_add_f16 v40, v131, v128
	;; [unrolled: 1-line block ×3, first 2 shown]
	v_pk_add_f16 v41, v129, v130 neg_lo:[0,1] neg_hi:[0,1]
	s_delay_alu instid0(VALU_DEP_2)
	v_pk_add_f16 v128, v45, v131
	v_pk_add_f16 v45, v127, v132 neg_lo:[0,1] neg_hi:[0,1]
	ds_load_b32 v127, v47 offset:7488
	s_waitcnt lgkmcnt(0)
	s_barrier
	v_pk_add_f16 v128, v128, v132
	buffer_gl0_inv
	v_pk_add_f16 v128, v128, v133
	v_pk_add_f16 v129, v127, v26
	v_pk_add_f16 v26, v26, v127 neg_lo:[0,1] neg_hi:[0,1]
	s_delay_alu instid0(VALU_DEP_3) | instskip(NEXT) | instid1(VALU_DEP_3)
	v_pk_add_f16 v127, v128, v127
	v_lshrrev_b32_e32 v130, 16, v129
	s_delay_alu instid0(VALU_DEP_1) | instskip(SKIP_3) | instid1(VALU_DEP_4)
	v_mul_f16_e64 v131, 0x388b, v130
	v_mul_f16_e64 v132, 0x2fb7, v130
	;; [unrolled: 1-line block ×4, first 2 shown]
	v_fma_f16 v134, 0x3a95, v26, v131
	v_fmac_f16_e64 v131, 0xba95, v26
	v_fma_f16 v135, 0x3bf1, v26, v132
	v_fmac_f16_e64 v132, 0xbbf1, v26
	;; [unrolled: 2-line block ×4, first 2 shown]
	v_add_f16_e64 v134, v138, v134
	v_add_f16_e64 v131, v138, v131
	;; [unrolled: 1-line block ×8, first 2 shown]
	v_pk_mul_f16 v138, 0xb770, v26 op_sel_hi:[0,1]
	s_delay_alu instid0(VALU_DEP_1) | instskip(SKIP_1) | instid1(VALU_DEP_1)
	v_pk_fma_f16 v139, 0x3b15, v129, v138 op_sel:[0,0,1] op_sel_hi:[0,1,0]
	v_pk_fma_f16 v138, 0x3b15, v129, v138 op_sel:[0,0,1] op_sel_hi:[0,1,0] neg_lo:[0,0,1] neg_hi:[0,0,1]
	v_bfi_b32 v142, 0xffff, v139, v138
	s_delay_alu instid0(VALU_DEP_1) | instskip(NEXT) | instid1(VALU_DEP_1)
	v_pk_add_f16 v142, v25, v142
	v_pk_add_f16 v142, v143, v142
	v_lshrrev_b32_e32 v143, 16, v26
	s_delay_alu instid0(VALU_DEP_1) | instskip(NEXT) | instid1(VALU_DEP_1)
	v_mul_f16_e64 v144, 0xba95, v143
	v_fma_f16 v145, 0x388b, v129, v144
	v_fma_f16 v144, v129, 0x388b, -v144
	s_delay_alu instid0(VALU_DEP_2) | instskip(NEXT) | instid1(VALU_DEP_2)
	v_add_f16_e64 v145, v25, v145
	v_add_f16_e64 v144, v25, v144
	s_delay_alu instid0(VALU_DEP_2) | instskip(SKIP_1) | instid1(VALU_DEP_3)
	v_add_f16_e64 v145, v148, v145
	v_lshrrev_b32_e32 v148, 16, v46
	v_add_f16_e64 v144, v147, v144
	v_mul_f16_e64 v147, 0xbbf1, v143
	s_delay_alu instid0(VALU_DEP_3) | instskip(NEXT) | instid1(VALU_DEP_1)
	v_mul_f16_e64 v149, 0xb5ac, v148
	v_fma_f16 v150, 0x3b7b, v126, v149
	v_fmac_f16_e64 v149, 0xbb7b, v126
	s_delay_alu instid0(VALU_DEP_2) | instskip(NEXT) | instid1(VALU_DEP_2)
	v_add_f16_e64 v134, v150, v134
	v_add_f16_e64 v131, v149, v131
	v_fma_f16 v149, 0x2fb7, v129, v147
	v_mul_f16_e64 v150, 0xb3a8, v146
	v_fma_f16 v147, v129, 0x2fb7, -v147
	s_delay_alu instid0(VALU_DEP_3) | instskip(NEXT) | instid1(VALU_DEP_3)
	v_add_f16_e64 v149, v25, v149
	v_fma_f16 v151, 0xbbc4, v46, v150
	v_fma_f16 v150, v46, 0xbbc4, -v150
	s_delay_alu instid0(VALU_DEP_4) | instskip(NEXT) | instid1(VALU_DEP_3)
	v_add_f16_e64 v147, v25, v147
	v_add_f16_e64 v149, v151, v149
	v_mul_f16_e64 v151, 0xbbc4, v148
	s_delay_alu instid0(VALU_DEP_3) | instskip(SKIP_2) | instid1(VALU_DEP_4)
	v_add_f16_e64 v147, v150, v147
	v_mul_f16_e64 v150, 0xbb7b, v143
	v_mul_f16_e64 v143, 0xb94e, v143
	v_fma_f16 v152, 0x33a8, v126, v151
	v_fmac_f16_e64 v151, 0xb3a8, v126
	s_delay_alu instid0(VALU_DEP_2) | instskip(NEXT) | instid1(VALU_DEP_2)
	v_add_f16_e64 v135, v152, v135
	v_add_f16_e64 v132, v151, v132
	v_fma_f16 v151, 0xb5ac, v129, v150
	v_mul_f16_e64 v152, 0x394e, v146
	v_fma_f16 v150, v129, 0xb5ac, -v150
	v_mul_f16_e64 v146, 0x3bf1, v146
	s_delay_alu instid0(VALU_DEP_4) | instskip(NEXT) | instid1(VALU_DEP_4)
	v_add_f16_e64 v151, v25, v151
	v_fma_f16 v153, 0xb9fd, v46, v152
	v_fma_f16 v152, v46, 0xb9fd, -v152
	v_add_f16_e64 v150, v25, v150
	s_delay_alu instid0(VALU_DEP_3) | instskip(SKIP_1) | instid1(VALU_DEP_3)
	v_add_f16_e64 v151, v153, v151
	v_mul_f16_e64 v153, 0xb9fd, v148
	v_add_f16_e64 v150, v152, v150
	v_fma_f16 v152, 0xb9fd, v129, v143
	v_fma_f16 v143, v129, 0xb9fd, -v143
	v_mul_f16_e64 v148, 0x2fb7, v148
	v_fma_f16 v154, 0xb94e, v126, v153
	v_fmac_f16_e64 v153, 0x394e, v126
	v_add_f16_e64 v152, v25, v152
	v_add_f16_e64 v143, v25, v143
	v_pk_mul_f16 v129, 0xbbc4, v129 op_sel_hi:[0,1]
	v_add_f16_e64 v136, v154, v136
	v_add_f16_e64 v133, v153, v133
	v_fma_f16 v153, 0x2fb7, v46, v146
	v_fma_f16 v146, v46, 0x2fb7, -v146
	v_pk_mul_f16 v46, 0x3b15, v46 op_sel_hi:[0,1]
	s_delay_alu instid0(VALU_DEP_3) | instskip(SKIP_1) | instid1(VALU_DEP_4)
	v_add_f16_e64 v152, v153, v152
	v_fma_f16 v153, 0xbbf1, v126, v148
	v_add_f16_e64 v143, v146, v143
	v_fmac_f16_e64 v148, 0x3bf1, v126
	v_pk_mul_f16 v146, 0xbbf1, v45 op_sel_hi:[0,1]
	s_delay_alu instid0(VALU_DEP_4) | instskip(NEXT) | instid1(VALU_DEP_3)
	v_add_f16_e64 v137, v153, v137
	v_add_f16_e64 v130, v148, v130
	s_delay_alu instid0(VALU_DEP_3) | instskip(SKIP_1) | instid1(VALU_DEP_1)
	v_pk_fma_f16 v148, 0x2fb7, v125, v146 op_sel:[0,0,1] op_sel_hi:[0,1,0]
	v_pk_fma_f16 v146, 0x2fb7, v125, v146 op_sel:[0,0,1] op_sel_hi:[0,1,0] neg_lo:[0,0,1] neg_hi:[0,0,1]
	v_bfi_b32 v153, 0xffff, v148, v146
	s_delay_alu instid0(VALU_DEP_1) | instskip(SKIP_1) | instid1(VALU_DEP_1)
	v_pk_add_f16 v142, v153, v142
	v_lshrrev_b32_e32 v153, 16, v45
	v_mul_f16_e64 v154, 0xb3a8, v153
	s_delay_alu instid0(VALU_DEP_1) | instskip(SKIP_1) | instid1(VALU_DEP_2)
	v_fma_f16 v155, 0xbbc4, v125, v154
	v_fma_f16 v154, v125, 0xbbc4, -v154
	v_add_f16_e64 v145, v155, v145
	v_lshrrev_b32_e32 v155, 16, v125
	s_delay_alu instid0(VALU_DEP_3) | instskip(SKIP_1) | instid1(VALU_DEP_3)
	v_add_f16_e64 v144, v154, v144
	v_mul_f16_e64 v154, 0x3b7b, v153
	v_mul_f16_e64 v156, 0xbbc4, v155
	s_delay_alu instid0(VALU_DEP_1) | instskip(SKIP_1) | instid1(VALU_DEP_2)
	v_fma_f16 v157, 0x33a8, v45, v156
	v_fmac_f16_e64 v156, 0xb3a8, v45
	v_add_f16_e64 v134, v157, v134
	s_delay_alu instid0(VALU_DEP_2) | instskip(SKIP_2) | instid1(VALU_DEP_2)
	v_add_f16_e64 v131, v156, v131
	v_fma_f16 v156, 0xb5ac, v125, v154
	v_fma_f16 v154, v125, 0xb5ac, -v154
	v_add_f16_e64 v149, v156, v149
	v_mul_f16_e64 v156, 0xb5ac, v155
	s_delay_alu instid0(VALU_DEP_3) | instskip(SKIP_2) | instid1(VALU_DEP_4)
	v_add_f16_e64 v147, v154, v147
	v_mul_f16_e64 v154, 0x3770, v153
	v_mul_f16_e64 v153, 0xba95, v153
	v_fma_f16 v157, 0xbb7b, v45, v156
	v_fmac_f16_e64 v156, 0x3b7b, v45
	s_delay_alu instid0(VALU_DEP_2) | instskip(NEXT) | instid1(VALU_DEP_2)
	v_add_f16_e64 v135, v157, v135
	v_add_f16_e64 v132, v156, v132
	v_fma_f16 v156, 0x3b15, v125, v154
	v_fma_f16 v154, v125, 0x3b15, -v154
	s_delay_alu instid0(VALU_DEP_2) | instskip(NEXT) | instid1(VALU_DEP_2)
	v_add_f16_e64 v151, v156, v151
	v_add_f16_e64 v150, v154, v150
	v_fma_f16 v154, 0x388b, v125, v153
	v_fma_f16 v153, v125, 0x388b, -v153
	v_mul_f16_e64 v156, 0x3b15, v155
	s_delay_alu instid0(VALU_DEP_3) | instskip(SKIP_1) | instid1(VALU_DEP_4)
	v_add_f16_e64 v152, v154, v152
	v_mul_f16_e64 v154, 0x388b, v155
	v_add_f16_e64 v143, v153, v143
	v_pk_mul_f16 v153, 0xbb7b, v44 op_sel_hi:[0,1]
	v_fma_f16 v157, 0xb770, v45, v156
	v_fmac_f16_e64 v156, 0x3770, v45
	v_fma_f16 v155, 0x3a95, v45, v154
	v_fmac_f16_e64 v154, 0xba95, v45
	s_delay_alu instid0(VALU_DEP_4) | instskip(NEXT) | instid1(VALU_DEP_4)
	v_add_f16_e64 v136, v157, v136
	v_add_f16_e64 v133, v156, v133
	s_delay_alu instid0(VALU_DEP_4) | instskip(NEXT) | instid1(VALU_DEP_4)
	v_add_f16_e64 v137, v155, v137
	v_add_f16_e64 v130, v154, v130
	v_pk_fma_f16 v154, 0xb5ac, v40, v153 op_sel:[0,0,1] op_sel_hi:[0,1,0]
	v_pk_fma_f16 v153, 0xb5ac, v40, v153 op_sel:[0,0,1] op_sel_hi:[0,1,0] neg_lo:[0,0,1] neg_hi:[0,0,1]
	s_delay_alu instid0(VALU_DEP_1) | instskip(NEXT) | instid1(VALU_DEP_1)
	v_bfi_b32 v155, 0xffff, v154, v153
	v_pk_add_f16 v142, v155, v142
	v_lshrrev_b32_e32 v155, 16, v44
	s_delay_alu instid0(VALU_DEP_1) | instskip(NEXT) | instid1(VALU_DEP_1)
	v_mul_f16_e64 v156, 0x394e, v155
	v_fma_f16 v157, 0xb9fd, v40, v156
	v_fma_f16 v156, v40, 0xb9fd, -v156
	s_delay_alu instid0(VALU_DEP_2) | instskip(SKIP_1) | instid1(VALU_DEP_3)
	v_add_f16_e64 v145, v157, v145
	v_lshrrev_b32_e32 v157, 16, v40
	v_add_f16_e64 v144, v156, v144
	v_mul_f16_e64 v156, 0x3770, v155
	s_delay_alu instid0(VALU_DEP_3) | instskip(SKIP_1) | instid1(VALU_DEP_2)
	v_mul_f16_e64 v158, 0xb9fd, v157
	v_mul_f16_e64 v128, 0xbbc4, v157
	v_fma_f16 v159, 0xb94e, v44, v158
	v_fmac_f16_e64 v158, 0x394e, v44
	s_delay_alu instid0(VALU_DEP_2) | instskip(NEXT) | instid1(VALU_DEP_2)
	v_add_f16_e64 v134, v159, v134
	v_add_f16_e64 v131, v158, v131
	v_fma_f16 v158, 0x3b15, v40, v156
	v_fma_f16 v156, v40, 0x3b15, -v156
	s_delay_alu instid0(VALU_DEP_2) | instskip(SKIP_1) | instid1(VALU_DEP_3)
	v_add_f16_e64 v149, v158, v149
	v_mul_f16_e64 v158, 0x3b15, v157
	v_add_f16_e64 v147, v156, v147
	v_mul_f16_e64 v156, 0xbbf1, v155
	v_mul_f16_e64 v155, 0x33a8, v155
	s_delay_alu instid0(VALU_DEP_4) | instskip(SKIP_1) | instid1(VALU_DEP_2)
	v_fma_f16 v159, 0xb770, v44, v158
	v_fmac_f16_e64 v158, 0x3770, v44
	v_add_f16_e64 v135, v159, v135
	s_delay_alu instid0(VALU_DEP_2) | instskip(SKIP_2) | instid1(VALU_DEP_2)
	v_add_f16_e64 v132, v158, v132
	v_fma_f16 v158, 0x2fb7, v40, v156
	v_fma_f16 v156, v40, 0x2fb7, -v156
	v_add_f16_e64 v151, v158, v151
	s_delay_alu instid0(VALU_DEP_2) | instskip(SKIP_4) | instid1(VALU_DEP_4)
	v_add_f16_e64 v150, v156, v150
	v_fma_f16 v156, 0xbbc4, v40, v155
	v_fma_f16 v155, v40, 0xbbc4, -v155
	v_mul_f16_e64 v158, 0x2fb7, v157
	v_pk_mul_f16 v40, 0x388b, v40 op_sel_hi:[0,1]
	v_add_f16_e64 v152, v156, v152
	v_fma_f16 v156, 0xb3a8, v44, v128
	v_fmac_f16_e64 v128, 0x33a8, v44
	v_add_f16_e64 v143, v155, v143
	v_fma_f16 v159, 0x3bf1, v44, v158
	v_fmac_f16_e64 v158, 0xbbf1, v44
	v_add_f16_e64 v137, v156, v137
	v_add_f16_e64 v128, v128, v130
	v_pk_mul_f16 v130, 0xb94e, v41 op_sel_hi:[0,1]
	v_add_f16_e64 v136, v159, v136
	v_add_f16_e64 v133, v158, v133
	s_delay_alu instid0(VALU_DEP_3) | instskip(SKIP_1) | instid1(VALU_DEP_1)
	v_pk_fma_f16 v155, 0xb9fd, v43, v130 op_sel:[0,0,1] op_sel_hi:[0,1,0]
	v_pk_fma_f16 v130, 0xb9fd, v43, v130 op_sel:[0,0,1] op_sel_hi:[0,1,0] neg_lo:[0,0,1] neg_hi:[0,0,1]
	v_bfi_b32 v156, 0xffff, v155, v130
	s_delay_alu instid0(VALU_DEP_1) | instskip(SKIP_1) | instid1(VALU_DEP_1)
	v_pk_add_f16 v142, v156, v142
	v_lshrrev_b32_e32 v156, 16, v41
	v_mul_f16_e64 v157, 0x3bf1, v156
	s_delay_alu instid0(VALU_DEP_1) | instskip(SKIP_1) | instid1(VALU_DEP_2)
	v_fma_f16 v158, 0x2fb7, v43, v157
	v_fma_f16 v157, v43, 0x2fb7, -v157
	v_add_f16_e64 v145, v158, v145
	v_lshrrev_b32_e32 v158, 16, v43
	s_delay_alu instid0(VALU_DEP_3) | instskip(SKIP_1) | instid1(VALU_DEP_3)
	v_add_f16_e64 v144, v157, v144
	v_mul_f16_e64 v157, 0xba95, v156
	v_mul_f16_e64 v159, 0x2fb7, v158
	s_delay_alu instid0(VALU_DEP_1) | instskip(SKIP_1) | instid1(VALU_DEP_2)
	v_fma_f16 v160, 0xbbf1, v41, v159
	v_fmac_f16_e64 v159, 0x3bf1, v41
	v_add_f16_e64 v134, v160, v134
	s_delay_alu instid0(VALU_DEP_2) | instskip(SKIP_2) | instid1(VALU_DEP_2)
	v_add_f16_e64 v131, v159, v131
	v_fma_f16 v159, 0x388b, v43, v157
	v_fma_f16 v157, v43, 0x388b, -v157
	v_add_f16_e64 v149, v159, v149
	v_mul_f16_e64 v159, 0x388b, v158
	s_delay_alu instid0(VALU_DEP_3) | instskip(SKIP_1) | instid1(VALU_DEP_3)
	v_add_f16_e64 v147, v157, v147
	v_mul_f16_e64 v157, 0x33a8, v156
	v_fma_f16 v160, 0x3a95, v41, v159
	v_fmac_f16_e64 v159, 0xba95, v41
	s_delay_alu instid0(VALU_DEP_2) | instskip(NEXT) | instid1(VALU_DEP_2)
	v_add_f16_e64 v135, v160, v135
	v_add_f16_e64 v132, v159, v132
	v_fma_f16 v159, 0xbbc4, v43, v157
	v_fma_f16 v157, v43, 0xbbc4, -v157
	s_delay_alu instid0(VALU_DEP_2) | instskip(SKIP_1) | instid1(VALU_DEP_3)
	v_add_f16_e64 v151, v159, v151
	v_mul_f16_e64 v159, 0xbbc4, v158
	v_add_f16_e64 v150, v157, v150
	v_pk_add_f16 v157, v37, v38 neg_lo:[0,1] neg_hi:[0,1]
	v_pk_add_f16 v37, v38, v37
	s_delay_alu instid0(VALU_DEP_4) | instskip(SKIP_1) | instid1(VALU_DEP_2)
	v_fma_f16 v160, 0xb3a8, v41, v159
	v_fmac_f16_e64 v159, 0x33a8, v41
	v_add_f16_e64 v136, v160, v136
	s_delay_alu instid0(VALU_DEP_2) | instskip(SKIP_1) | instid1(VALU_DEP_1)
	v_add_f16_e64 v38, v159, v133
	v_mul_f16_e64 v133, 0x3770, v156
	v_fma_f16 v156, 0x3b15, v43, v133
	v_fma_f16 v133, v43, 0x3b15, -v133
	v_pk_mul_f16 v43, 0xb5ac, v43 op_sel_hi:[0,1]
	s_delay_alu instid0(VALU_DEP_3) | instskip(SKIP_1) | instid1(VALU_DEP_4)
	v_add_f16_e64 v152, v156, v152
	v_mul_f16_e64 v156, 0x3b15, v158
	v_add_f16_e64 v133, v133, v143
	v_pk_mul_f16 v143, 0xb3a8, v157 op_sel_hi:[0,1]
	s_delay_alu instid0(VALU_DEP_3) | instskip(SKIP_1) | instid1(VALU_DEP_2)
	v_fma_f16 v158, 0xb770, v41, v156
	v_fmac_f16_e64 v156, 0x3770, v41
	v_add_f16_e64 v137, v158, v137
	s_delay_alu instid0(VALU_DEP_2) | instskip(SKIP_2) | instid1(VALU_DEP_1)
	v_add_f16_e64 v128, v156, v128
	v_pk_fma_f16 v156, 0xbbc4, v37, v143 op_sel:[0,0,1] op_sel_hi:[0,1,0]
	v_pk_fma_f16 v143, 0xbbc4, v37, v143 op_sel:[0,0,1] op_sel_hi:[0,1,0] neg_lo:[0,0,1] neg_hi:[0,0,1]
	v_bfi_b32 v158, 0xffff, v156, v143
	s_delay_alu instid0(VALU_DEP_1) | instskip(SKIP_1) | instid1(VALU_DEP_1)
	v_pk_add_f16 v142, v158, v142
	v_lshrrev_b32_e32 v158, 16, v157
	v_mul_f16_e64 v159, 0x3770, v158
	s_delay_alu instid0(VALU_DEP_1) | instskip(SKIP_1) | instid1(VALU_DEP_2)
	v_fma_f16 v160, 0x3b15, v37, v159
	v_fma_f16 v159, v37, 0x3b15, -v159
	v_add_f16_e64 v145, v160, v145
	v_lshrrev_b32_e32 v160, 16, v37
	s_delay_alu instid0(VALU_DEP_3) | instskip(SKIP_1) | instid1(VALU_DEP_3)
	v_add_f16_e64 v144, v159, v144
	v_mul_f16_e64 v159, 0xb94e, v158
	v_mul_f16_e64 v161, 0x3b15, v160
	s_delay_alu instid0(VALU_DEP_1) | instskip(SKIP_1) | instid1(VALU_DEP_2)
	v_fma_f16 v162, 0xb770, v157, v161
	v_fmac_f16_e64 v161, 0x3770, v157
	v_add_f16_e64 v134, v162, v134
	s_delay_alu instid0(VALU_DEP_2) | instskip(SKIP_2) | instid1(VALU_DEP_2)
	v_add_f16_e64 v131, v161, v131
	v_fma_f16 v161, 0xb9fd, v37, v159
	v_fma_f16 v159, v37, 0xb9fd, -v159
	v_add_f16_e64 v149, v161, v149
	v_mul_f16_e64 v161, 0xb9fd, v160
	s_delay_alu instid0(VALU_DEP_3) | instskip(SKIP_2) | instid1(VALU_DEP_4)
	v_add_f16_e64 v147, v159, v147
	v_mul_f16_e64 v159, 0x3a95, v158
	v_mul_f16_e64 v158, 0xbb7b, v158
	v_fma_f16 v162, 0x394e, v157, v161
	v_fmac_f16_e64 v161, 0xb94e, v157
	s_delay_alu instid0(VALU_DEP_2) | instskip(NEXT) | instid1(VALU_DEP_2)
	v_add_f16_e64 v135, v162, v135
	v_add_f16_e64 v132, v161, v132
	v_fma_f16 v161, 0x388b, v37, v159
	v_fma_f16 v159, v37, 0x388b, -v159
	s_delay_alu instid0(VALU_DEP_4)
	v_pack_b32_f16 v135, v149, v135
	v_pk_fma_f16 v149, 0xb3a8, v26, v129 op_sel:[0,0,1] op_sel_hi:[0,1,0]
	v_pk_fma_f16 v26, 0xb3a8, v26, v129 op_sel:[0,0,1] op_sel_hi:[0,1,0] neg_lo:[0,1,0] neg_hi:[0,1,0]
	v_bfi_b32 v129, 0xffff, v138, v139
	v_pk_fma_f16 v139, 0x3770, v126, v46 op_sel:[0,0,1] op_sel_hi:[0,1,0]
	v_pk_fma_f16 v46, 0x3770, v126, v46 op_sel:[0,0,1] op_sel_hi:[0,1,0] neg_lo:[0,1,0] neg_hi:[0,1,0]
	v_alignbit_b32 v138, s0, v149, 16
	v_pk_add_f16 v26, v25, v26 op_sel:[1,0] op_sel_hi:[0,1]
	v_pk_add_f16 v129, v25, v129
	v_alignbit_b32 v126, s0, v139, 16
	v_add_f16_e64 v150, v159, v150
	v_pk_add_f16 v138, v25, v138
	v_alignbit_b32 v25, s0, v25, 16
	v_pk_add_f16 v26, v46, v26
	v_pk_mul_f16 v46, 0xb9fd, v125 op_sel_hi:[0,1]
	v_fma_f16 v159, 0xb5ac, v37, v158
	v_pk_add_f16 v126, v126, v138
	v_pk_add_f16 v25, v25, v149
	v_fma_f16 v158, v37, 0xb5ac, -v158
	v_pk_fma_f16 v125, 0xb94e, v45, v46 op_sel:[0,0,1] op_sel_hi:[0,1,0]
	v_pk_fma_f16 v45, 0xb94e, v45, v46 op_sel:[0,0,1] op_sel_hi:[0,1,0] neg_lo:[0,1,0] neg_hi:[0,1,0]
	v_pk_mul_f16 v37, 0x2fb7, v37 op_sel_hi:[0,1]
	v_pk_add_f16 v25, v139, v25
	v_add_f16_e64 v151, v161, v151
	v_alignbit_b32 v46, s0, v125, 16
	v_pk_add_f16 v26, v45, v26
	v_pk_fma_f16 v45, 0x3a95, v44, v40 op_sel:[0,0,1] op_sel_hi:[0,1,0]
	v_pk_add_f16 v25, v125, v25
	v_pk_fma_f16 v40, 0x3a95, v44, v40 op_sel:[0,0,1] op_sel_hi:[0,1,0] neg_lo:[0,1,0] neg_hi:[0,1,0]
	v_pk_add_f16 v46, v46, v126
	v_mul_f16_e64 v161, 0x388b, v160
	v_alignbit_b32 v44, s0, v45, 16
	v_pk_add_f16 v25, v45, v25
	v_pk_fma_f16 v45, 0xbb7b, v41, v43 op_sel:[0,0,1] op_sel_hi:[0,1,0]
	v_pk_add_f16 v26, v40, v26
	v_bfi_b32 v40, 0xffff, v140, v141
	v_pk_add_f16 v44, v44, v46
	v_pk_fma_f16 v41, 0xbb7b, v41, v43 op_sel:[0,0,1] op_sel_hi:[0,1,0] neg_lo:[0,1,0] neg_hi:[0,1,0]
	v_alignbit_b32 v43, s0, v45, 16
	v_add_f16_e64 v152, v159, v152
	v_pk_add_f16 v40, v40, v129
	v_mul_f16_e64 v159, 0xb5ac, v160
	v_pk_add_f16 v26, v41, v26
	v_pk_add_f16 v43, v43, v44
	v_bfi_b32 v44, 0xffff, v146, v148
	v_pk_fma_f16 v41, 0x3bf1, v157, v37 op_sel:[0,0,1] op_sel_hi:[0,1,0]
	v_pk_fma_f16 v37, 0x3bf1, v157, v37 op_sel:[0,0,1] op_sel_hi:[0,1,0] neg_lo:[0,1,0] neg_hi:[0,1,0]
	v_fma_f16 v162, 0xba95, v157, v161
	v_fma_f16 v160, 0x3b7b, v157, v159
	v_pk_add_f16 v40, v44, v40
	v_bfi_b32 v44, 0xffff, v153, v154
	v_pk_add_f16 v25, v45, v25
	v_alignbit_b32 v46, s0, v41, 16
	v_fmac_f16_e64 v161, 0x3a95, v157
	v_fmac_f16_e64 v159, 0xbb7b, v157
	v_pk_add_f16 v26, v37, v26
	v_pk_add_f16 v37, v44, v40
	v_bfi_b32 v40, 0xffff, v130, v155
	v_add_f16_e64 v136, v162, v136
	v_add_f16_e64 v137, v160, v137
	v_pk_add_f16 v43, v46, v43
	v_pk_add_f16 v25, v41, v25
	v_add_f16_e64 v38, v161, v38
	v_add_f16_e64 v133, v158, v133
	v_add_f16_e64 v128, v159, v128
	v_pk_add_f16 v37, v40, v37
	v_bfi_b32 v40, 0xffff, v143, v156
	v_pack_b32_f16 v45, v145, v134
	v_pack_b32_f16 v41, v152, v137
	;; [unrolled: 1-line block ×3, first 2 shown]
	v_alignbit_b32 v25, v25, v26, 16
	v_pack_b32_f16 v26, v43, v26
	v_pack_b32_f16 v38, v150, v38
	;; [unrolled: 1-line block ×5, first 2 shown]
	v_pk_add_f16 v125, v40, v37
	ds_store_2addr_b32 v39, v127, v142 offset1:1
	ds_store_2addr_b32 v39, v45, v135 offset0:2 offset1:3
	ds_store_2addr_b32 v39, v44, v41 offset0:4 offset1:5
	;; [unrolled: 1-line block ×5, first 2 shown]
	ds_store_b32 v39, v125 offset:48
	v_add_nc_u32_e32 v39, 0xf00, v47
	v_add_nc_u32_e32 v40, 0x1400, v47
	;; [unrolled: 1-line block ×4, first 2 shown]
	s_waitcnt lgkmcnt(0)
	s_barrier
	buffer_gl0_inv
	ds_load_2addr_b32 v[37:38], v47 offset1:156
	ds_load_2addr_b32 v[25:26], v42 offset0:56 offset1:251
	ds_load_2addr_b32 v[45:46], v39 offset0:54 offset1:210
	;; [unrolled: 1-line block ×5, first 2 shown]
	v_lshrrev_b32_e32 v126, 16, v125
	s_and_saveexec_b32 s1, vcc_lo
	s_cbranch_execz .LBB0_11
; %bb.10:
	ds_load_b32 v125, v47 offset:1872
	ds_load_b32 v123, v47 offset:3900
	;; [unrolled: 1-line block ×4, first 2 shown]
	s_waitcnt lgkmcnt(3)
	v_lshrrev_b32_e32 v126, 16, v125
	s_waitcnt lgkmcnt(2)
	v_lshrrev_b32_e32 v124, 16, v123
	;; [unrolled: 2-line block ×4, first 2 shown]
.LBB0_11:
	s_or_b32 exec_lo, exec_lo, s1
	s_waitcnt lgkmcnt(4)
	v_lshrrev_b32_e32 v128, 16, v26
	s_waitcnt lgkmcnt(3)
	v_lshrrev_b32_e32 v129, 16, v45
	;; [unrolled: 2-line block ×4, first 2 shown]
	v_lshrrev_b32_e32 v133, 16, v46
	v_mul_f16_e64 v139, v91, v128
	v_mul_f16_e64 v140, v90, v129
	;; [unrolled: 1-line block ×3, first 2 shown]
	s_waitcnt lgkmcnt(0)
	v_lshrrev_b32_e32 v134, 16, v39
	v_lshrrev_b32_e32 v136, 16, v44
	v_lshrrev_b32_e32 v137, 16, v41
	v_mul_f16_e32 v91, v91, v26
	v_mul_f16_e32 v90, v90, v45
	v_fmac_f16_e64 v139, v21, v26
	v_fmac_f16_e64 v140, v22, v45
	;; [unrolled: 1-line block ×3, first 2 shown]
	v_mul_f16_e32 v26, v88, v42
	v_mul_f16_e64 v42, v89, v132
	v_mul_f16_e32 v45, v89, v43
	v_mul_f16_e64 v88, v87, v133
	v_lshrrev_b32_e32 v138, 16, v40
	v_mul_f16_e32 v87, v87, v46
	v_fma_f16 v23, v23, v130, -v26
	v_fmac_f16_e32 v42, v18, v43
	v_fma_f16 v18, v18, v132, -v45
	v_fmac_f16_e32 v88, v19, v46
	v_mul_f16_e64 v26, v86, v134
	v_mul_f16_e32 v43, v86, v39
	v_mul_f16_e64 v45, v85, v136
	v_mul_f16_e32 v46, v85, v44
	v_mul_f16_e64 v85, v84, v137
	v_fmac_f16_e32 v26, v20, v39
	v_fma_f16 v20, v20, v134, -v43
	v_mul_f16_e32 v39, v84, v41
	v_mul_f16_e32 v43, v83, v40
	v_fmac_f16_e32 v85, v16, v41
	v_mul_f16_e64 v41, v83, v138
	v_lshrrev_b32_e32 v127, 16, v37
	v_fmac_f16_e32 v45, v15, v44
	v_fma_f16 v15, v15, v136, -v46
	v_mul_f16_e32 v44, v82, v124
	v_fmac_f16_e32 v41, v17, v40
	v_fma_f16 v17, v17, v138, -v43
	v_sub_f16_e64 v40, v37, v140
	v_sub_f16_e64 v43, v139, v141
	v_mul_f16_e32 v46, v82, v123
	v_mul_f16_e32 v83, v80, v96
	;; [unrolled: 1-line block ×3, first 2 shown]
	v_fma_f16 v37, v37, 2.0, -v40
	v_fma_f16 v82, v139, 2.0, -v43
	v_sub_f16_e32 v26, v42, v26
	v_fmac_f16_e32 v83, v14, v95
	v_fma_f16 v14, v14, v96, -v80
	v_lshrrev_b32_e32 v131, 16, v38
	v_sub_f16_e32 v82, v37, v82
	v_fma_f16 v42, v42, 2.0, -v26
	v_fma_f16 v21, v21, v128, -v91
	v_fma_f16 v22, v22, v129, -v90
	;; [unrolled: 1-line block ×3, first 2 shown]
	v_fma_f16 v80, v37, 2.0, -v82
	v_sub_f16_e32 v37, v38, v88
	v_mul_f16_e32 v39, v81, v122
	v_sub_f16_e32 v84, v25, v85
	v_sub_f16_e32 v41, v45, v41
	v_lshrrev_b32_e32 v135, 16, v25
	v_fma_f16 v38, v38, 2.0, -v37
	v_fmac_f16_e32 v44, v12, v123
	v_sub_f16_e32 v22, v127, v22
	v_sub_f16_e32 v23, v21, v23
	v_fmac_f16_e32 v39, v13, v121
	v_sub_f16_e32 v42, v38, v42
	v_mul_f16_e32 v81, v81, v121
	v_fma_f16 v25, v25, 2.0, -v84
	v_fma_f16 v19, v19, v133, -v87
	v_fma_f16 v12, v12, v124, -v46
	v_fma_f16 v85, v38, 2.0, -v42
	v_fma_f16 v38, v45, 2.0, -v41
	;; [unrolled: 1-line block ×4, first 2 shown]
	v_fma_f16 v13, v13, v122, -v81
	v_sub_f16_e32 v20, v18, v20
	v_sub_f16_e32 v17, v15, v17
	;; [unrolled: 1-line block ×5, first 2 shown]
	v_sub_f16_e64 v19, v131, v19
	v_sub_f16_e64 v16, v135, v16
	v_sub_f16_e32 v21, v46, v21
	v_add_f16_e32 v23, v40, v23
	v_sub_f16_e32 v43, v22, v43
	v_fma_f16 v18, v18, 2.0, -v20
	v_add_f16_e32 v20, v37, v20
	v_fma_f16 v15, v15, 2.0, -v17
	v_fma_f16 v88, v25, 2.0, -v86
	v_sub_f16_e32 v89, v126, v13
	v_sub_f16_e32 v13, v12, v14
	v_add_f16_e32 v14, v84, v17
	v_fma_f16 v17, v125, 2.0, -v38
	v_fma_f16 v25, v44, 2.0, -v83
	v_fma_f16 v81, v131, 2.0, -v19
	v_sub_f16_e32 v45, v19, v26
	v_fma_f16 v26, v135, 2.0, -v16
	v_fma_f16 v46, v46, 2.0, -v21
	;; [unrolled: 1-line block ×7, first 2 shown]
	v_sub_f16_e32 v37, v17, v25
	v_sub_f16_e32 v18, v81, v18
	;; [unrolled: 1-line block ×5, first 2 shown]
	v_add_f16_e32 v12, v38, v13
	v_fma_f16 v25, v17, 2.0, -v37
	v_sub_f16_e32 v13, v89, v83
	v_pack_b32_f16 v17, v80, v46
	v_pack_b32_f16 v22, v40, v22
	v_fma_f16 v81, v81, 2.0, -v18
	v_fma_f16 v19, v19, 2.0, -v45
	;; [unrolled: 1-line block ×8, first 2 shown]
	s_barrier
	buffer_gl0_inv
	ds_store_2addr_b32 v79, v17, v22 offset1:13
	v_pack_b32_f16 v17, v82, v21
	v_pack_b32_f16 v21, v23, v43
	;; [unrolled: 1-line block ×10, first 2 shown]
	ds_store_2addr_b32 v79, v17, v21 offset0:26 offset1:39
	ds_store_2addr_b32 v78, v22, v19 offset1:13
	ds_store_2addr_b32 v78, v18, v20 offset0:26 offset1:39
	ds_store_2addr_b32 v77, v23, v16 offset1:13
	ds_store_2addr_b32 v77, v15, v14 offset0:26 offset1:39
	s_and_saveexec_b32 s1, vcc_lo
	s_cbranch_execz .LBB0_13
; %bb.12:
	v_mad_u16 v14, v75, 52, v76
	v_perm_b32 v15, v26, v25, 0x5040100
	v_perm_b32 v16, v40, v38, 0x5040100
	;; [unrolled: 1-line block ×4, first 2 shown]
	v_and_b32_e32 v14, 0xffff, v14
	s_delay_alu instid0(VALU_DEP_1)
	v_lshlrev_b32_e32 v14, 2, v14
	ds_store_2addr_b32 v14, v15, v16 offset1:13
	ds_store_2addr_b32 v14, v17, v12 offset0:26 offset1:39
.LBB0_13:
	s_or_b32 exec_lo, exec_lo, s1
	v_add_nc_u32_e32 v14, 0xa00, v47
	v_add_nc_u32_e32 v15, 0x1400, v47
	;; [unrolled: 1-line block ×5, first 2 shown]
	s_waitcnt lgkmcnt(0)
	s_barrier
	buffer_gl0_inv
	ds_load_2addr_b32 v[12:13], v47 offset1:156
	ds_load_2addr_b32 v[22:23], v14 offset0:36 offset1:192
	ds_load_2addr_b32 v[20:21], v15 offset0:72 offset1:228
	;; [unrolled: 1-line block ×4, first 2 shown]
	ds_load_2addr_b32 v[16:17], v41 offset1:156
	s_and_saveexec_b32 s1, s0
	s_cbranch_execz .LBB0_15
; %bb.14:
	ds_load_b32 v25, v47 offset:2496
	ds_load_b32 v38, v47 offset:5200
	;; [unrolled: 1-line block ×3, first 2 shown]
	s_waitcnt lgkmcnt(2)
	v_lshrrev_b32_e32 v26, 16, v25
	s_waitcnt lgkmcnt(1)
	v_lshrrev_b32_e32 v40, 16, v38
	;; [unrolled: 2-line block ×3, first 2 shown]
.LBB0_15:
	s_or_b32 exec_lo, exec_lo, s1
	s_waitcnt lgkmcnt(4)
	v_lshrrev_b32_e32 v42, 16, v22
	s_waitcnt lgkmcnt(3)
	v_lshrrev_b32_e32 v43, 16, v20
	v_lshrrev_b32_e32 v45, 16, v23
	v_mul_f16_e32 v81, v119, v22
	v_lshrrev_b32_e32 v46, 16, v21
	v_mul_f16_e32 v79, v119, v42
	v_mul_f16_e32 v83, v118, v43
	s_waitcnt lgkmcnt(1)
	v_lshrrev_b32_e32 v76, 16, v18
	s_waitcnt lgkmcnt(0)
	v_lshrrev_b32_e32 v77, 16, v16
	v_lshrrev_b32_e32 v80, 16, v19
	v_fmac_f16_e32 v79, v35, v22
	v_mul_f16_e32 v22, v118, v20
	v_fma_f16 v35, v35, v42, -v81
	v_mul_f16_e32 v42, v117, v45
	v_fmac_f16_e32 v83, v36, v20
	v_mul_f16_e32 v20, v117, v23
	v_fma_f16 v22, v36, v43, -v22
	v_mul_f16_e32 v36, v116, v46
	;; [unrolled: 4-line block ×4, first 2 shown]
	v_lshrrev_b32_e32 v82, 16, v17
	v_fmac_f16_e32 v33, v31, v18
	v_mul_f16_e32 v18, v114, v16
	v_fma_f16 v21, v31, v76, -v21
	v_mul_f16_e32 v31, v113, v80
	v_fmac_f16_e32 v34, v32, v16
	v_mul_f16_e32 v16, v113, v19
	v_fma_f16 v18, v32, v77, -v18
	v_mul_f16_e32 v32, v111, v82
	v_fmac_f16_e32 v31, v29, v19
	v_mul_f16_e32 v19, v111, v17
	v_fma_f16 v16, v29, v80, -v16
	v_add_f16_e32 v29, v79, v83
	v_lshrrev_b32_e32 v41, 16, v12
	v_fmac_f16_e32 v32, v30, v17
	v_fma_f16 v19, v30, v82, -v19
	v_add_f16_e32 v30, v35, v22
	v_add_f16_e32 v17, v12, v79
	v_fma_f16 v12, -0.5, v29, v12
	v_sub_f16_e32 v29, v35, v22
	v_add_f16_e32 v35, v41, v35
	v_fmac_f16_e32 v41, -0.5, v30
	v_sub_f16_e32 v30, v79, v83
	v_lshrrev_b32_e32 v44, 16, v13
	v_fmamk_f16 v43, v29, 0xbaee, v12
	v_fmac_f16_e32 v12, 0x3aee, v29
	v_add_f16_e32 v29, v42, v36
	v_add_f16_e32 v22, v35, v22
	v_fmamk_f16 v35, v30, 0x3aee, v41
	v_fmac_f16_e32 v41, 0xbaee, v30
	v_add_f16_e32 v30, v20, v23
	v_add_f16_e32 v45, v13, v42
	v_fmac_f16_e32 v13, -0.5, v29
	v_sub_f16_e32 v29, v20, v23
	v_add_f16_e32 v20, v44, v20
	v_fmac_f16_e32 v44, -0.5, v30
	v_sub_f16_e32 v30, v42, v36
	v_lshrrev_b32_e32 v75, 16, v14
	v_add_f16_e32 v45, v45, v36
	v_add_f16_e32 v20, v20, v23
	;; [unrolled: 1-line block ×3, first 2 shown]
	v_fmamk_f16 v36, v29, 0xbaee, v13
	v_fmac_f16_e32 v13, 0x3aee, v29
	v_fmamk_f16 v29, v30, 0x3aee, v44
	v_fmac_f16_e32 v44, 0xbaee, v30
	v_add_f16_e32 v30, v21, v18
	v_add_f16_e32 v42, v14, v33
	v_fma_f16 v14, -0.5, v23, v14
	v_sub_f16_e32 v23, v21, v18
	v_add_f16_e32 v21, v75, v21
	v_fmac_f16_e32 v75, -0.5, v30
	v_sub_f16_e32 v30, v33, v34
	v_lshrrev_b32_e32 v78, 16, v15
	v_fmamk_f16 v33, v23, 0xbaee, v14
	v_add_f16_e32 v18, v21, v18
	v_add_f16_e32 v21, v31, v32
	v_fmac_f16_e32 v14, 0x3aee, v23
	v_fmamk_f16 v23, v30, 0x3aee, v75
	v_fmac_f16_e32 v75, 0xbaee, v30
	v_add_f16_e32 v30, v16, v19
	v_add_f16_e32 v17, v17, v83
	;; [unrolled: 1-line block ×4, first 2 shown]
	v_fmac_f16_e32 v15, -0.5, v21
	v_sub_f16_e32 v21, v16, v19
	v_add_f16_e32 v16, v78, v16
	v_fmac_f16_e32 v78, -0.5, v30
	v_sub_f16_e32 v30, v31, v32
	v_add_f16_e32 v31, v34, v32
	v_fmamk_f16 v32, v21, 0xbaee, v15
	v_fmac_f16_e32 v15, 0x3aee, v21
	v_pack_b32_f16 v17, v17, v22
	v_pack_b32_f16 v21, v43, v35
	;; [unrolled: 1-line block ×5, first 2 shown]
	v_add_f16_e32 v16, v16, v19
	v_fmamk_f16 v19, v30, 0x3aee, v78
	v_fmac_f16_e32 v78, 0xbaee, v30
	s_barrier
	buffer_gl0_inv
	ds_store_2addr_b32 v97, v17, v21 offset1:52
	ds_store_b32 v97, v12 offset:416
	ds_store_2addr_b32 v94, v20, v22 offset1:52
	v_pack_b32_f16 v12, v13, v44
	v_pack_b32_f16 v13, v42, v18
	;; [unrolled: 1-line block ×7, first 2 shown]
	ds_store_b32 v94, v12 offset:416
	ds_store_2addr_b32 v93, v13, v17 offset1:52
	ds_store_b32 v93, v14 offset:416
	ds_store_2addr_b32 v92, v16, v18 offset1:52
	ds_store_b32 v92, v15 offset:416
	s_and_saveexec_b32 s1, s0
	s_cbranch_execz .LBB0_17
; %bb.16:
	v_mul_f16_e32 v12, v99, v38
	v_mul_f16_e32 v13, v98, v37
	;; [unrolled: 1-line block ×4, first 2 shown]
	v_lshlrev_b32_e32 v20, 2, v101
	v_fma_f16 v12, v27, v40, -v12
	v_fma_f16 v13, v28, v39, -v13
	v_fmac_f16_e32 v14, v27, v38
	v_fmac_f16_e32 v15, v28, v37
	s_delay_alu instid0(VALU_DEP_3) | instskip(SKIP_1) | instid1(VALU_DEP_3)
	v_add_f16_e32 v16, v13, v12
	v_sub_f16_e32 v19, v12, v13
	v_add_f16_e32 v17, v15, v14
	v_sub_f16_e32 v18, v14, v15
	v_add_f16_e32 v12, v12, v26
	v_fma_f16 v16, -0.5, v16, v26
	v_add_f16_e32 v14, v25, v14
	v_fma_f16 v17, -0.5, v17, v25
	s_delay_alu instid0(VALU_DEP_4) | instskip(NEXT) | instid1(VALU_DEP_4)
	v_add_f16_e32 v12, v13, v12
	v_fmamk_f16 v13, v18, 0xbaee, v16
	v_fmac_f16_e32 v16, 0x3aee, v18
	s_delay_alu instid0(VALU_DEP_4) | instskip(SKIP_3) | instid1(VALU_DEP_4)
	v_fmamk_f16 v21, v19, 0x3aee, v17
	v_add_f16_e32 v14, v15, v14
	v_fmac_f16_e32 v17, 0xbaee, v19
	v_add_nc_u32_e32 v15, 0x1c00, v20
	v_pack_b32_f16 v13, v21, v13
	s_delay_alu instid0(VALU_DEP_4) | instskip(NEXT) | instid1(VALU_DEP_4)
	v_pack_b32_f16 v12, v14, v12
	v_pack_b32_f16 v14, v17, v16
	ds_store_2addr_b32 v15, v12, v14 offset0:80 offset1:132
	ds_store_b32 v20, v13 offset:7904
.LBB0_17:
	s_or_b32 exec_lo, exec_lo, s1
	s_waitcnt lgkmcnt(0)
	s_barrier
	buffer_gl0_inv
	v_add_nc_u32_e32 v16, 0x400, v47
	ds_load_2addr_b32 v[18:19], v47 offset1:156
	v_add_nc_u32_e32 v15, 0x900, v47
	v_add_nc_u32_e32 v14, 0xe00, v47
	;; [unrolled: 1-line block ×3, first 2 shown]
	ds_load_2addr_b32 v[20:21], v16 offset0:56 offset1:212
	v_add_nc_u32_e32 v12, 0x1800, v47
	ds_load_2addr_b32 v[22:23], v15 offset0:48 offset1:204
	ds_load_b32 v31, v47 offset:7488
	ds_load_2addr_b32 v[25:26], v14 offset0:40 offset1:196
	ds_load_2addr_b32 v[27:28], v13 offset0:96 offset1:252
	ds_load_2addr_b32 v[29:30], v12 offset0:24 offset1:180
	s_mov_b32 s8, 0xfc7729e9
	s_mov_b32 s9, 0x3f402864
	s_waitcnt lgkmcnt(6)
	v_lshrrev_b32_e32 v17, 16, v19
	v_mul_f16_e32 v34, v120, v19
	v_lshrrev_b32_e32 v32, 16, v18
	s_waitcnt lgkmcnt(5)
	v_lshrrev_b32_e32 v35, 16, v20
	v_lshrrev_b32_e32 v36, 16, v21
	v_mul_f16_e32 v45, v120, v17
	s_waitcnt lgkmcnt(4)
	v_lshrrev_b32_e32 v37, 16, v22
	v_lshrrev_b32_e32 v38, 16, v23
	v_mul_f16_e32 v46, v110, v35
	v_mul_f16_e32 v75, v110, v20
	v_fma_f16 v34, v4, v17, -v34
	v_mul_f16_e32 v76, v106, v36
	v_fmac_f16_e32 v45, v4, v19
	v_mul_f16_e32 v4, v106, v21
	s_waitcnt lgkmcnt(2)
	v_lshrrev_b32_e32 v39, 16, v25
	v_fmac_f16_e32 v46, v5, v20
	v_fma_f16 v19, v5, v35, -v75
	v_fmac_f16_e32 v76, v6, v21
	v_mul_f16_e32 v20, v105, v37
	v_mul_f16_e32 v5, v105, v22
	;; [unrolled: 1-line block ×3, first 2 shown]
	v_fma_f16 v21, v6, v36, -v4
	v_mul_f16_e32 v6, v103, v23
	v_fmac_f16_e32 v20, v7, v22
	v_fma_f16 v22, v7, v37, -v5
	v_fmac_f16_e32 v17, v0, v23
	v_mul_f16_e32 v4, v102, v39
	v_fma_f16 v7, v0, v38, -v6
	v_mul_f16_e32 v0, v102, v25
	v_add_f16_e32 v35, v32, v34
	v_lshrrev_b32_e32 v40, 16, v26
	v_add_f16_e32 v23, v18, v45
	v_fmac_f16_e32 v4, v1, v25
	v_fma_f16 v6, v1, v39, -v0
	v_add_f16_e32 v1, v35, v19
	s_waitcnt lgkmcnt(1)
	v_lshrrev_b32_e32 v41, 16, v27
	v_mul_f16_e32 v5, v100, v40
	v_add_f16_e32 v0, v23, v46
	v_mul_f16_e32 v23, v100, v26
	v_add_f16_e32 v1, v1, v21
	v_lshrrev_b32_e32 v42, 16, v28
	v_fmac_f16_e32 v5, v2, v26
	v_mul_f16_e32 v25, v107, v41
	v_add_f16_e32 v0, v0, v76
	v_fma_f16 v2, v2, v40, -v23
	v_mul_f16_e32 v23, v107, v27
	v_add_f16_e32 v1, v1, v22
	s_waitcnt lgkmcnt(0)
	v_lshrrev_b32_e32 v43, 16, v29
	v_fmac_f16_e32 v25, v3, v27
	v_add_f16_e32 v0, v0, v20
	v_mul_f16_e32 v26, v108, v42
	v_fma_f16 v3, v3, v41, -v23
	v_mul_f16_e32 v23, v108, v28
	v_add_f16_e32 v1, v1, v7
	v_add_f16_e32 v0, v0, v17
	v_fmac_f16_e32 v26, v8, v28
	v_mul_f16_e32 v27, v109, v43
	v_fma_f16 v8, v8, v42, -v23
	v_add_f16_e32 v1, v1, v6
	v_mul_f16_e32 v23, v109, v29
	v_lshrrev_b32_e32 v33, 16, v31
	v_lshrrev_b32_e32 v44, 16, v30
	v_add_f16_e32 v0, v0, v4
	v_fmac_f16_e32 v27, v9, v29
	v_add_f16_e32 v1, v1, v2
	v_fma_f16 v9, v9, v43, -v23
	v_mul_f16_e32 v23, v112, v31
	v_mul_f16_e32 v28, v104, v44
	v_add_f16_e32 v0, v0, v5
	v_add_f16_e32 v1, v1, v3
	v_mul_f16_e32 v29, v112, v33
	v_fma_f16 v23, v11, v33, -v23
	v_fmac_f16_e32 v28, v10, v30
	v_add_f16_e32 v0, v0, v25
	v_mul_f16_e32 v30, v104, v30
	v_add_f16_e32 v1, v1, v8
	v_fmac_f16_e32 v29, v11, v31
	v_sub_f16_e32 v11, v34, v23
	v_add_f16_e32 v0, v0, v26
	v_fma_f16 v10, v10, v44, -v30
	v_add_f16_e32 v1, v1, v9
	v_add_f16_e32 v30, v45, v29
	v_mul_f16_e32 v31, 0xb770, v11
	v_add_f16_e32 v0, v0, v27
	v_add_f16_e32 v33, v34, v23
	;; [unrolled: 1-line block ×3, first 2 shown]
	v_sub_f16_e32 v83, v19, v10
	v_fmamk_f16 v35, v30, 0x3b15, v31
	v_add_f16_e32 v0, v0, v28
	v_sub_f16_e32 v34, v45, v29
	v_mul_f16_e32 v36, 0x3b15, v33
	v_add_f16_e32 v1, v1, v23
	v_add_f16_e32 v23, v18, v35
	v_mul_f16_e32 v35, 0xba95, v11
	v_mul_f16_e32 v37, 0x388b, v33
	;; [unrolled: 1-line block ×10, first 2 shown]
	v_add_f16_e32 v85, v46, v28
	v_mul_f16_e32 v86, 0xba95, v83
	v_add_f16_e32 v10, v19, v10
	v_add_f16_e32 v0, v0, v29
	v_fmamk_f16 v29, v34, 0x3770, v36
	v_fma_f16 v31, v30, 0x3b15, -v31
	v_fmac_f16_e32 v36, 0xb770, v34
	v_fmamk_f16 v38, v30, 0x388b, v35
	v_fmamk_f16 v39, v34, 0x3a95, v37
	v_fma_f16 v35, v30, 0x388b, -v35
	v_fmac_f16_e32 v37, 0xba95, v34
	v_fmamk_f16 v41, v30, 0x2fb7, v40
	;; [unrolled: 4-line block ×5, first 2 shown]
	v_fmamk_f16 v84, v34, 0x33a8, v33
	v_fma_f16 v11, v30, 0xbbc4, -v11
	v_fmac_f16_e32 v33, 0xb3a8, v34
	v_sub_f16_e32 v19, v46, v28
	v_fmamk_f16 v28, v85, 0x388b, v86
	v_mul_f16_e32 v30, 0x388b, v10
	v_add_f16_e32 v29, v32, v29
	v_add_f16_e32 v31, v18, v31
	;; [unrolled: 1-line block ×24, first 2 shown]
	v_fmamk_f16 v28, v19, 0x3a95, v30
	v_mul_f16_e32 v32, 0xbb7b, v83
	v_fma_f16 v33, v85, 0x388b, -v86
	v_fmac_f16_e32 v30, 0xba95, v19
	v_mul_f16_e32 v46, 0xb5ac, v10
	v_add_f16_e32 v28, v28, v29
	v_fmamk_f16 v29, v85, 0xb5ac, v32
	v_add_f16_e32 v31, v33, v31
	v_add_f16_e32 v30, v30, v36
	v_fmamk_f16 v33, v19, 0x3b7b, v46
	v_mul_f16_e32 v36, 0xb3a8, v83
	v_add_f16_e32 v29, v29, v38
	v_fma_f16 v32, v85, 0xb5ac, -v32
	v_fmac_f16_e32 v46, 0xbb7b, v19
	v_add_f16_e32 v33, v33, v39
	v_fmamk_f16 v38, v85, 0xbbc4, v36
	v_mul_f16_e32 v39, 0xbbc4, v10
	v_add_f16_e32 v32, v32, v35
	v_add_f16_e32 v35, v46, v37
	v_mul_f16_e32 v37, 0x394e, v83
	v_add_f16_e32 v38, v38, v41
	v_fmamk_f16 v41, v19, 0x33a8, v39
	v_fmac_f16_e32 v39, 0xb3a8, v19
	v_mul_f16_e32 v84, 0xb9fd, v10
	v_fma_f16 v36, v85, 0xbbc4, -v36
	v_fmamk_f16 v46, v85, 0xb9fd, v37
	v_add_f16_e32 v41, v41, v44
	v_add_f16_e32 v39, v39, v42
	v_fmamk_f16 v42, v19, 0xb94e, v84
	v_mul_f16_e32 v44, 0x3bf1, v83
	v_add_f16_e32 v36, v36, v40
	v_add_f16_e32 v40, v46, v45
	v_fma_f16 v37, v85, 0xb9fd, -v37
	v_mul_f16_e32 v45, 0x2fb7, v10
	v_add_f16_e32 v42, v42, v77
	v_fmamk_f16 v46, v85, 0x2fb7, v44
	v_mul_f16_e32 v77, 0x3770, v83
	v_fma_f16 v44, v85, 0x2fb7, -v44
	v_add_f16_e32 v37, v37, v43
	v_fmamk_f16 v43, v19, 0xbbf1, v45
	v_add_f16_e32 v46, v46, v80
	v_fmac_f16_e32 v45, 0x3bf1, v19
	v_fmamk_f16 v80, v85, 0x3b15, v77
	v_add_f16_e32 v44, v44, v78
	v_sub_f16_e32 v78, v21, v9
	v_add_f16_e32 v43, v43, v81
	v_mul_f16_e32 v10, 0x3b15, v10
	v_add_f16_e32 v45, v45, v79
	v_add_f16_e32 v79, v80, v82
	;; [unrolled: 1-line block ×3, first 2 shown]
	v_mul_f16_e32 v82, 0xbbf1, v78
	v_add_f16_e32 v9, v21, v9
	v_fmac_f16_e32 v84, 0x394e, v19
	v_fmamk_f16 v80, v19, 0xb770, v10
	v_fma_f16 v21, v85, 0x3b15, -v77
	v_fmac_f16_e32 v10, 0x3770, v19
	v_sub_f16_e32 v19, v76, v27
	v_fmamk_f16 v27, v81, 0x2fb7, v82
	v_mul_f16_e32 v76, 0x2fb7, v9
	v_add_f16_e32 v11, v21, v11
	v_add_f16_e32 v10, v10, v18
	v_mul_f16_e32 v77, 0xbbc4, v9
	v_add_f16_e32 v18, v27, v23
	v_fmamk_f16 v21, v19, 0x3bf1, v76
	v_mul_f16_e32 v23, 0xb3a8, v78
	v_fma_f16 v27, v81, 0x2fb7, -v82
	v_fmac_f16_e32 v76, 0xbbf1, v19
	v_add_f16_e32 v34, v80, v34
	v_add_f16_e32 v21, v21, v28
	v_fmamk_f16 v28, v81, 0xbbc4, v23
	v_add_f16_e32 v27, v27, v31
	v_add_f16_e32 v30, v76, v30
	v_fmamk_f16 v31, v19, 0x33a8, v77
	v_mul_f16_e32 v76, 0x3b7b, v78
	v_fma_f16 v23, v81, 0xbbc4, -v23
	v_fmac_f16_e32 v77, 0xb3a8, v19
	v_add_f16_e32 v28, v28, v29
	v_add_f16_e32 v29, v31, v33
	v_fmamk_f16 v31, v81, 0xb5ac, v76
	v_mul_f16_e32 v33, 0xb5ac, v9
	v_add_f16_e32 v23, v23, v32
	v_add_f16_e32 v32, v77, v35
	v_mul_f16_e32 v35, 0x3770, v78
	v_add_f16_e32 v31, v31, v38
	v_fmamk_f16 v38, v19, 0xbb7b, v33
	v_fmac_f16_e32 v33, 0x3b7b, v19
	v_mul_f16_e32 v80, 0x3b15, v9
	v_fmamk_f16 v77, v81, 0x3b15, v35
	v_fma_f16 v76, v81, 0xb5ac, -v76
	v_add_f16_e32 v38, v38, v41
	v_add_f16_e32 v33, v33, v39
	v_mul_f16_e32 v41, 0xba95, v78
	v_add_f16_e32 v39, v77, v40
	v_fmamk_f16 v40, v19, 0xb770, v80
	v_add_f16_e32 v36, v76, v36
	v_fma_f16 v35, v81, 0x3b15, -v35
	v_mul_f16_e32 v76, 0x388b, v9
	v_mul_f16_e32 v77, 0xb94e, v78
	v_add_f16_e32 v40, v40, v42
	v_fmamk_f16 v42, v81, 0x388b, v41
	v_fma_f16 v41, v81, 0x388b, -v41
	v_add_f16_e32 v35, v35, v37
	v_fmamk_f16 v37, v19, 0x3a95, v76
	v_fmac_f16_e32 v76, 0xba95, v19
	v_mul_f16_e32 v9, 0xb9fd, v9
	v_add_f16_e32 v41, v41, v44
	v_sub_f16_e32 v44, v22, v8
	v_add_f16_e32 v8, v22, v8
	v_add_f16_e32 v45, v76, v45
	;; [unrolled: 1-line block ×3, first 2 shown]
	v_fmac_f16_e32 v80, 0x3770, v19
	v_mul_f16_e32 v78, 0xbb7b, v44
	v_add_f16_e32 v42, v42, v46
	v_fmamk_f16 v46, v19, 0x394e, v9
	v_fma_f16 v22, v81, 0xb9fd, -v77
	v_fmac_f16_e32 v9, 0xb94e, v19
	v_sub_f16_e32 v19, v20, v26
	v_fmamk_f16 v20, v76, 0xb5ac, v78
	v_mul_f16_e32 v26, 0xb5ac, v8
	v_add_f16_e32 v34, v46, v34
	v_add_f16_e32 v11, v22, v11
	;; [unrolled: 1-line block ×4, first 2 shown]
	v_fmamk_f16 v18, v19, 0x3b7b, v26
	v_mul_f16_e32 v20, 0x394e, v44
	v_fma_f16 v22, v76, 0xb5ac, -v78
	v_fmac_f16_e32 v26, 0xbb7b, v19
	v_mul_f16_e32 v46, 0xb9fd, v8
	v_add_f16_e32 v18, v18, v21
	v_fmamk_f16 v21, v76, 0xb9fd, v20
	v_add_f16_e32 v22, v22, v27
	v_add_f16_e32 v26, v26, v30
	v_fmamk_f16 v27, v19, 0xb94e, v46
	v_mul_f16_e32 v30, 0x3770, v44
	v_add_f16_e32 v21, v21, v28
	v_fma_f16 v20, v76, 0xb9fd, -v20
	v_fmac_f16_e32 v46, 0x394e, v19
	v_add_f16_e32 v27, v27, v29
	v_fmamk_f16 v28, v76, 0x3b15, v30
	v_mul_f16_e32 v29, 0x3b15, v8
	v_add_f16_e32 v37, v37, v43
	v_fmamk_f16 v43, v81, 0xb9fd, v77
	v_add_f16_e32 v20, v20, v23
	v_add_f16_e32 v23, v46, v32
	v_mul_f16_e32 v32, 0xbbf1, v44
	v_add_f16_e32 v28, v28, v31
	v_fmamk_f16 v31, v19, 0xb770, v29
	v_fma_f16 v30, v76, 0x3b15, -v30
	v_mul_f16_e32 v77, 0x2fb7, v8
	v_fmac_f16_e32 v29, 0x3770, v19
	v_fmamk_f16 v46, v76, 0x2fb7, v32
	v_add_f16_e32 v31, v31, v38
	v_add_f16_e32 v30, v30, v36
	v_fmamk_f16 v36, v19, 0x3bf1, v77
	v_mul_f16_e32 v38, 0x33a8, v44
	v_add_f16_e32 v29, v29, v33
	v_add_f16_e32 v33, v46, v39
	v_mul_f16_e32 v39, 0xbbc4, v8
	v_add_f16_e32 v36, v36, v40
	v_fmamk_f16 v40, v76, 0xbbc4, v38
	v_mul_f16_e32 v44, 0x3a95, v44
	v_fma_f16 v38, v76, 0xbbc4, -v38
	v_add_f16_e32 v43, v43, v79
	v_fmamk_f16 v46, v19, 0xb3a8, v39
	v_add_f16_e32 v40, v40, v42
	v_fmac_f16_e32 v39, 0x33a8, v19
	v_fmamk_f16 v42, v76, 0x388b, v44
	v_mul_f16_e32 v8, 0x388b, v8
	v_add_f16_e32 v38, v38, v41
	v_sub_f16_e32 v41, v7, v3
	v_add_f16_e32 v3, v7, v3
	v_fmac_f16_e32 v77, 0xbbf1, v19
	v_add_f16_e32 v39, v39, v45
	v_add_f16_e32 v42, v42, v43
	v_fmamk_f16 v43, v19, 0xba95, v8
	v_add_f16_e32 v45, v17, v25
	v_mul_f16_e32 v7, 0xb94e, v41
	v_fmac_f16_e32 v8, 0x3a95, v19
	v_sub_f16_e32 v17, v17, v25
	v_mul_f16_e32 v19, 0xb9fd, v3
	v_add_f16_e32 v34, v43, v34
	v_fmamk_f16 v25, v45, 0xb9fd, v7
	v_add_f16_e32 v8, v8, v9
	v_fma_f16 v7, v45, 0xb9fd, -v7
	v_fmamk_f16 v9, v17, 0x394e, v19
	v_fmac_f16_e32 v19, 0xb94e, v17
	v_add_f16_e32 v10, v25, v10
	v_mul_f16_e32 v25, 0x3bf1, v41
	v_add_f16_e32 v7, v7, v22
	v_add_f16_e32 v9, v9, v18
	v_mul_f16_e32 v18, 0x2fb7, v3
	v_add_f16_e32 v19, v19, v26
	v_fmamk_f16 v43, v45, 0x2fb7, v25
	v_mul_f16_e32 v22, 0xba95, v41
	v_fma_f16 v25, v45, 0x2fb7, -v25
	v_fmamk_f16 v26, v17, 0xbbf1, v18
	v_add_f16_e32 v75, v84, v75
	v_fma_f16 v44, v76, 0x388b, -v44
	v_add_f16_e32 v21, v43, v21
	v_fmac_f16_e32 v18, 0x3bf1, v17
	v_fmamk_f16 v43, v45, 0x388b, v22
	v_add_f16_e32 v26, v26, v27
	v_mul_f16_e32 v27, 0x388b, v3
	v_add_f16_e32 v20, v25, v20
	v_mul_f16_e32 v25, 0x33a8, v41
	v_add_f16_e32 v75, v80, v75
	v_fma_f16 v32, v76, 0x2fb7, -v32
	v_add_f16_e32 v11, v44, v11
	v_add_f16_e32 v18, v18, v23
	;; [unrolled: 1-line block ×3, first 2 shown]
	v_fmamk_f16 v28, v17, 0x3a95, v27
	v_fma_f16 v22, v45, 0x388b, -v22
	v_fmac_f16_e32 v27, 0xba95, v17
	v_mul_f16_e32 v43, 0xbbc4, v3
	v_fmamk_f16 v44, v45, 0xbbc4, v25
	v_add_f16_e32 v32, v32, v35
	v_add_f16_e32 v35, v77, v75
	;; [unrolled: 1-line block ×5, first 2 shown]
	v_fmamk_f16 v29, v17, 0xb3a8, v43
	v_add_f16_e32 v30, v44, v33
	v_mul_f16_e32 v31, 0x3770, v41
	v_fma_f16 v25, v45, 0xbbc4, -v25
	v_fmac_f16_e32 v43, 0x33a8, v17
	v_mul_f16_e32 v33, 0x3b15, v3
	v_add_f16_e32 v29, v29, v36
	v_fmamk_f16 v36, v45, 0x3b15, v31
	v_add_f16_e32 v25, v25, v32
	v_add_f16_e32 v32, v43, v35
	v_mul_f16_e32 v35, 0xbb7b, v41
	v_fmamk_f16 v41, v17, 0xb770, v33
	v_fmac_f16_e32 v33, 0x3770, v17
	v_add_f16_e32 v37, v46, v37
	v_add_f16_e32 v36, v36, v40
	v_fma_f16 v31, v45, 0x3b15, -v31
	v_fmamk_f16 v40, v45, 0xb5ac, v35
	v_mul_f16_e32 v3, 0xb5ac, v3
	v_add_f16_e32 v33, v33, v39
	v_sub_f16_e32 v39, v6, v2
	v_add_f16_e32 v2, v6, v2
	v_add_f16_e32 v37, v41, v37
	;; [unrolled: 1-line block ×4, first 2 shown]
	v_fmamk_f16 v40, v17, 0x3b7b, v3
	v_fma_f16 v35, v45, 0xb5ac, -v35
	v_add_f16_e32 v6, v4, v5
	v_mul_f16_e32 v41, 0xb3a8, v39
	v_fmac_f16_e32 v3, 0xbb7b, v17
	v_sub_f16_e32 v4, v4, v5
	v_mul_f16_e32 v5, 0xbbc4, v2
	v_add_f16_e32 v17, v40, v34
	v_fmamk_f16 v34, v6, 0xbbc4, v41
	v_add_f16_e32 v11, v35, v11
	v_add_f16_e32 v3, v3, v8
	v_fmamk_f16 v8, v4, 0x33a8, v5
	v_mul_f16_e32 v35, 0x3770, v39
	v_fmac_f16_e32 v5, 0xb3a8, v4
	v_add_f16_e32 v10, v34, v10
	v_fma_f16 v34, v6, 0xbbc4, -v41
	v_add_f16_e32 v8, v8, v9
	v_fmamk_f16 v9, v6, 0x3b15, v35
	v_mul_f16_e32 v40, 0x3b15, v2
	v_add_f16_e32 v5, v5, v19
	v_mul_f16_e32 v19, 0xb94e, v39
	v_add_f16_e32 v7, v34, v7
	v_add_f16_e32 v9, v9, v21
	v_fmamk_f16 v21, v4, 0xb770, v40
	v_fma_f16 v34, v6, 0x3b15, -v35
	v_fmamk_f16 v35, v6, 0xb9fd, v19
	v_mul_f16_e32 v41, 0xb9fd, v2
	v_fmac_f16_e32 v40, 0x3770, v4
	v_add_f16_e32 v21, v21, v26
	v_add_f16_e32 v20, v34, v20
	v_add_f16_e32 v23, v35, v23
	v_fmamk_f16 v26, v4, 0x394e, v41
	v_mul_f16_e32 v34, 0x3a95, v39
	v_fma_f16 v19, v6, 0xb9fd, -v19
	v_fmac_f16_e32 v41, 0xb94e, v4
	v_mul_f16_e32 v35, 0x388b, v2
	v_add_f16_e32 v18, v40, v18
	v_add_f16_e32 v26, v26, v28
	v_fmamk_f16 v28, v6, 0x388b, v34
	v_add_f16_e32 v19, v19, v22
	v_add_f16_e32 v22, v41, v27
	v_fmamk_f16 v27, v4, 0xba95, v35
	v_mul_f16_e32 v40, 0xbb7b, v39
	v_add_f16_e32 v28, v28, v30
	v_fma_f16 v30, v6, 0x388b, -v34
	v_fmac_f16_e32 v35, 0x3a95, v4
	v_add_f16_e32 v27, v27, v29
	v_fmamk_f16 v29, v6, 0xb5ac, v40
	v_mul_f16_e32 v34, 0xb5ac, v2
	v_add_f16_e32 v25, v30, v25
	v_add_f16_e32 v30, v35, v32
	v_mul_f16_e32 v32, 0x3bf1, v39
	v_add_f16_e32 v29, v29, v36
	v_fma_f16 v36, v6, 0xb5ac, -v40
	v_mul_f16_e32 v2, 0x2fb7, v2
	v_fmamk_f16 v35, v4, 0x3b7b, v34
	v_fmac_f16_e32 v34, 0xbb7b, v4
	v_fmamk_f16 v39, v6, 0x2fb7, v32
	v_add_f16_e32 v31, v36, v31
	v_fmamk_f16 v36, v4, 0xbbf1, v2
	v_fma_f16 v6, v6, 0x2fb7, -v32
	v_fmac_f16_e32 v2, 0x3bf1, v4
	v_add_f16_e32 v35, v35, v37
	v_pack_b32_f16 v0, v0, v1
	v_pack_b32_f16 v1, v10, v8
	v_add_f16_e32 v33, v34, v33
	v_add_f16_e32 v34, v39, v38
	v_pack_b32_f16 v4, v9, v21
	v_pack_b32_f16 v8, v23, v26
	v_add_f16_e32 v9, v36, v17
	v_add_f16_e32 v6, v6, v11
	;; [unrolled: 1-line block ×3, first 2 shown]
	ds_store_2addr_b32 v47, v0, v1 offset1:156
	ds_store_2addr_b32 v16, v4, v8 offset0:56 offset1:212
	v_pack_b32_f16 v0, v28, v27
	v_pack_b32_f16 v1, v29, v35
	;; [unrolled: 1-line block ×9, first 2 shown]
	ds_store_2addr_b32 v15, v0, v1 offset0:48 offset1:204
	ds_store_2addr_b32 v14, v3, v2 offset0:40 offset1:196
	ds_store_2addr_b32 v13, v4, v6 offset0:96 offset1:252
	ds_store_2addr_b32 v12, v8, v9 offset0:24 offset1:180
	ds_store_b32 v47, v5 offset:7488
	s_waitcnt lgkmcnt(0)
	s_barrier
	buffer_gl0_inv
	ds_load_2addr_b32 v[0:1], v47 offset1:156
	s_waitcnt lgkmcnt(0)
	v_lshrrev_b32_e32 v4, 16, v0
	s_delay_alu instid0(VALU_DEP_1) | instskip(NEXT) | instid1(VALU_DEP_1)
	v_mul_f16_e32 v2, v74, v4
	v_fmac_f16_e32 v2, v72, v0
	v_mul_f16_e32 v0, v74, v0
	s_delay_alu instid0(VALU_DEP_2) | instskip(NEXT) | instid1(VALU_DEP_2)
	v_cvt_f32_f16_e32 v2, v2
	v_fma_f16 v0, v72, v4, -v0
	s_delay_alu instid0(VALU_DEP_2) | instskip(NEXT) | instid1(VALU_DEP_2)
	v_cvt_f64_f32_e32 v[2:3], v2
	v_cvt_f32_f16_e32 v0, v0
	s_delay_alu instid0(VALU_DEP_1) | instskip(SKIP_1) | instid1(VALU_DEP_1)
	v_cvt_f64_f32_e32 v[4:5], v0
	v_lshrrev_b32_e32 v0, 16, v1
	v_mul_f16_e32 v6, v73, v0
	s_delay_alu instid0(VALU_DEP_1) | instskip(SKIP_1) | instid1(VALU_DEP_2)
	v_fmac_f16_e32 v6, v70, v1
	v_mul_f16_e32 v1, v73, v1
	v_cvt_f32_f16_e32 v6, v6
	s_delay_alu instid0(VALU_DEP_2) | instskip(NEXT) | instid1(VALU_DEP_1)
	v_fma_f16 v0, v70, v0, -v1
	v_cvt_f32_f16_e32 v0, v0
	v_mul_f64 v[2:3], v[2:3], s[8:9]
	v_mul_f64 v[4:5], v[4:5], s[8:9]
	s_delay_alu instid0(VALU_DEP_2) | instskip(SKIP_2) | instid1(VALU_DEP_3)
	v_and_or_b32 v2, 0x1ff, v3, v2
	v_lshrrev_b32_e32 v7, 8, v3
	v_bfe_u32 v8, v3, 20, 11
	v_cmp_ne_u32_e32 vcc_lo, 0, v2
	v_bfe_u32 v19, v5, 20, 11
	s_delay_alu instid0(VALU_DEP_3) | instskip(SKIP_2) | instid1(VALU_DEP_1)
	v_add_nc_u32_e32 v18, 0xfffffc10, v8
	v_lshrrev_b32_e32 v28, 16, v5
	v_cndmask_b32_e64 v2, 0, 1, vcc_lo
	v_and_or_b32 v17, 0xffe, v7, v2
	v_sub_nc_u32_e32 v2, 0x3f1, v8
	v_cvt_f64_f32_e32 v[6:7], v6
	s_delay_alu instid0(VALU_DEP_3) | instskip(NEXT) | instid1(VALU_DEP_3)
	v_or_b32_e32 v9, 0x1000, v17
	v_med3_i32 v2, v2, 0, 13
	v_lshl_or_b32 v8, v18, 12, v17
	s_delay_alu instid0(VALU_DEP_2) | instskip(NEXT) | instid1(VALU_DEP_1)
	v_lshrrev_b32_e32 v10, v2, v9
	v_lshlrev_b32_e32 v2, v2, v10
	s_delay_alu instid0(VALU_DEP_1) | instskip(SKIP_3) | instid1(VALU_DEP_3)
	v_cmp_ne_u32_e32 vcc_lo, v2, v9
	v_and_or_b32 v2, 0x1ff, v5, v4
	v_lshrrev_b32_e32 v9, 8, v5
	v_cndmask_b32_e64 v1, 0, 1, vcc_lo
	v_cmp_ne_u32_e32 vcc_lo, 0, v2
	s_delay_alu instid0(VALU_DEP_2) | instskip(SKIP_3) | instid1(VALU_DEP_3)
	v_or_b32_e32 v4, v10, v1
	v_cndmask_b32_e64 v2, 0, 1, vcc_lo
	v_cmp_gt_i32_e32 vcc_lo, 1, v18
	v_cvt_f64_f32_e32 v[0:1], v0
	v_and_or_b32 v20, 0xffe, v9, v2
	v_cndmask_b32_e32 v4, v8, v4, vcc_lo
	v_sub_nc_u32_e32 v2, 0x3f1, v19
	v_mul_f64 v[6:7], v[6:7], s[8:9]
	v_mad_u64_u32 v[8:9], null, s6, v24, 0
	v_or_b32_e32 v21, 0x1000, v20
	s_delay_alu instid0(VALU_DEP_4) | instskip(SKIP_2) | instid1(VALU_DEP_3)
	v_med3_i32 v10, v2, 0, 13
	v_and_b32_e32 v2, 7, v4
	v_lshrrev_b32_e32 v4, 2, v4
	v_lshrrev_b32_e32 v22, v10, v21
	s_delay_alu instid0(VALU_DEP_3) | instskip(SKIP_2) | instid1(VALU_DEP_2)
	v_cmp_lt_i32_e32 vcc_lo, 5, v2
	v_cmp_eq_u32_e64 s0, 3, v2
	v_mov_b32_e32 v2, v9
	s_or_b32 vcc_lo, s0, vcc_lo
	v_add_co_ci_u32_e32 v4, vcc_lo, 0, v4, vcc_lo
	v_lshlrev_b32_e32 v9, v10, v22
	ds_load_2addr_b32 v[10:11], v16 offset0:56 offset1:212
	v_cmp_ne_u32_e32 vcc_lo, v9, v21
	v_cndmask_b32_e64 v9, 0, 1, vcc_lo
	v_cmp_ne_u32_e32 vcc_lo, 0, v17
	v_mul_f64 v[0:1], v[0:1], s[8:9]
	s_delay_alu instid0(VALU_DEP_3) | instskip(SKIP_4) | instid1(VALU_DEP_4)
	v_or_b32_e32 v9, v22, v9
	v_cndmask_b32_e64 v16, 0, 1, vcc_lo
	v_add_nc_u32_e32 v19, 0xfffffc10, v19
	v_cmp_gt_i32_e32 vcc_lo, 31, v18
	v_and_or_b32 v6, 0x1ff, v7, v6
	v_lshl_or_b32 v22, v16, 9, 0x7c00
	s_delay_alu instid0(VALU_DEP_4)
	v_lshl_or_b32 v21, v19, 12, v20
	v_cndmask_b32_e32 v4, 0x7c00, v4, vcc_lo
	v_cmp_gt_i32_e32 vcc_lo, 1, v19
	v_mad_u64_u32 v[16:17], null, s7, v24, v[2:3]
	v_lshrrev_b32_e32 v3, 16, v3
	v_cmp_ne_u32_e64 s0, 0, v6
	v_cndmask_b32_e32 v2, v21, v9, vcc_lo
	v_cmp_eq_u32_e32 vcc_lo, 0x40f, v18
	s_waitcnt lgkmcnt(0)
	v_lshrrev_b32_e32 v18, 16, v10
	v_lshrrev_b32_e32 v6, 8, v7
	v_mov_b32_e32 v9, v16
	v_and_b32_e32 v17, 7, v2
	v_cndmask_b32_e32 v4, v4, v22, vcc_lo
	v_bfe_u32 v22, v7, 20, 11
	v_lshrrev_b32_e32 v2, 2, v2
	s_delay_alu instid0(VALU_DEP_4) | instskip(NEXT) | instid1(VALU_DEP_4)
	v_cmp_lt_i32_e32 vcc_lo, 5, v17
	v_and_or_b32 v21, 0x8000, v3, v4
	v_mul_f16_e32 v3, v71, v18
	v_cndmask_b32_e64 v4, 0, 1, s0
	v_cmp_eq_u32_e64 s0, 3, v17
	s_delay_alu instid0(VALU_DEP_3) | instskip(NEXT) | instid1(VALU_DEP_3)
	v_fmac_f16_e32 v3, v68, v10
	v_and_or_b32 v6, 0xffe, v6, v4
	v_sub_nc_u32_e32 v4, 0x3f1, v22
	s_delay_alu instid0(VALU_DEP_4)
	s_or_b32 vcc_lo, s0, vcc_lo
	v_and_or_b32 v0, 0x1ff, v1, v0
	v_cvt_f32_f16_e32 v3, v3
	v_add_co_ci_u32_e32 v16, vcc_lo, 0, v2, vcc_lo
	v_or_b32_e32 v23, 0x1000, v6
	v_med3_i32 v4, v4, 0, 13
	s_delay_alu instid0(VALU_DEP_4)
	v_cvt_f64_f32_e32 v[2:3], v3
	v_cmp_ne_u32_e32 vcc_lo, 0, v20
	v_lshrrev_b32_e32 v26, 8, v1
	v_bfe_u32 v27, v1, 20, 11
	v_lshrrev_b32_e32 v24, v4, v23
	v_mul_f16_e32 v10, v71, v10
	v_cndmask_b32_e64 v17, 0, 1, vcc_lo
	v_cmp_gt_i32_e32 vcc_lo, 31, v19
	v_add_nc_u32_e32 v22, 0xfffffc10, v22
	v_lshlrev_b32_e32 v4, v4, v24
	v_fma_f16 v10, v68, v18, -v10
	v_lshl_or_b32 v25, v17, 9, 0x7c00
	v_cndmask_b32_e32 v20, 0x7c00, v16, vcc_lo
	v_cmp_ne_u32_e32 vcc_lo, 0, v0
	v_mad_u64_u32 v[16:17], null, s4, v67, 0
	v_lshl_or_b32 v18, v22, 12, v6
	v_cndmask_b32_e64 v0, 0, 1, vcc_lo
	v_cmp_ne_u32_e32 vcc_lo, v4, v23
	s_delay_alu instid0(VALU_DEP_2) | instskip(SKIP_3) | instid1(VALU_DEP_3)
	v_and_or_b32 v23, 0xffe, v26, v0
	v_cndmask_b32_e64 v4, 0, 1, vcc_lo
	v_sub_nc_u32_e32 v0, 0x3f1, v27
	v_cmp_eq_u32_e32 vcc_lo, 0x40f, v19
	v_or_b32_e32 v4, v24, v4
	v_or_b32_e32 v24, 0x1000, v23
	s_delay_alu instid0(VALU_DEP_4) | instskip(SKIP_3) | instid1(VALU_DEP_4)
	v_med3_i32 v26, v0, 0, 13
	v_cvt_f32_f16_e32 v0, v10
	v_cndmask_b32_e32 v10, v20, v25, vcc_lo
	v_cmp_gt_i32_e32 vcc_lo, 1, v22
	v_lshrrev_b32_e32 v25, v26, v24
	v_mul_f64 v[2:3], v[2:3], s[8:9]
	v_cndmask_b32_e32 v20, v18, v4, vcc_lo
	v_cvt_f64_f32_e32 v[18:19], v0
	v_mov_b32_e32 v0, v17
	v_lshlrev_b32_e32 v26, v26, v25
	s_delay_alu instid0(VALU_DEP_4) | instskip(NEXT) | instid1(VALU_DEP_3)
	v_and_b32_e32 v17, 7, v20
	v_mad_u64_u32 v[4:5], null, s5, v67, v[0:1]
	s_delay_alu instid0(VALU_DEP_3) | instskip(NEXT) | instid1(VALU_DEP_3)
	v_cmp_ne_u32_e64 s0, v26, v24
	v_cmp_lt_i32_e32 vcc_lo, 5, v17
	v_and_or_b32 v0, 0x8000, v28, v10
	v_add_nc_u32_e32 v10, 0xfffffc10, v27
	s_delay_alu instid0(VALU_DEP_4)
	v_cndmask_b32_e64 v5, 0, 1, s0
	v_cmp_eq_u32_e64 s0, 3, v17
	v_mov_b32_e32 v17, v4
	v_lshrrev_b32_e32 v4, 2, v20
	v_lshl_or_b32 v20, v10, 12, v23
	v_or_b32_e32 v5, v25, v5
	s_or_b32 vcc_lo, s0, vcc_lo
	s_delay_alu instid0(VALU_DEP_3) | instskip(SKIP_3) | instid1(VALU_DEP_2)
	v_add_co_ci_u32_e32 v4, vcc_lo, 0, v4, vcc_lo
	v_cmp_ne_u32_e32 vcc_lo, 0, v6
	v_cndmask_b32_e64 v6, 0, 1, vcc_lo
	v_cmp_gt_i32_e32 vcc_lo, 1, v10
	v_lshl_or_b32 v6, v6, 9, 0x7c00
	v_cndmask_b32_e32 v20, v20, v5, vcc_lo
	v_cmp_gt_i32_e32 vcc_lo, 31, v22
	v_and_b32_e32 v5, 0xffff, v21
	v_and_or_b32 v2, 0x1ff, v3, v2
	s_delay_alu instid0(VALU_DEP_4)
	v_and_b32_e32 v24, 7, v20
	v_cndmask_b32_e32 v21, 0x7c00, v4, vcc_lo
	v_cmp_eq_u32_e32 vcc_lo, 0x40f, v22
	v_lshl_or_b32 v25, v0, 16, v5
	v_lshlrev_b64 v[4:5], 2, v[8:9]
	v_mul_f64 v[8:9], v[18:19], s[8:9]
	v_cmp_eq_u32_e64 s0, 3, v24
	v_cndmask_b32_e32 v0, v21, v6, vcc_lo
	v_cmp_lt_i32_e32 vcc_lo, 5, v24
	v_lshrrev_b32_e32 v21, 16, v11
	v_lshrrev_b32_e32 v6, 2, v20
	;; [unrolled: 1-line block ×3, first 2 shown]
	v_bfe_u32 v20, v3, 20, 11
	s_or_b32 vcc_lo, s0, vcc_lo
	v_mul_f16_e32 v7, v69, v21
	v_add_co_ci_u32_e32 v19, vcc_lo, 0, v6, vcc_lo
	v_cmp_ne_u32_e32 vcc_lo, 0, v2
	v_lshrrev_b32_e32 v6, 8, v3
	s_delay_alu instid0(VALU_DEP_4)
	v_fmac_f16_e32 v7, v65, v11
	v_and_or_b32 v18, 0x8000, v18, v0
	v_mul_f16_e32 v11, v69, v11
	v_cndmask_b32_e64 v2, 0, 1, vcc_lo
	v_cmp_ne_u32_e32 vcc_lo, 0, v23
	v_cvt_f32_f16_e32 v7, v7
	v_sub_nc_u32_e32 v23, 0x3f1, v20
	v_fma_f16 v11, v65, v21, -v11
	v_and_or_b32 v2, 0xffe, v6, v2
	v_cndmask_b32_e64 v22, 0, 1, vcc_lo
	v_cmp_gt_i32_e32 vcc_lo, 31, v10
	v_cvt_f64_f32_e32 v[6:7], v7
	v_med3_i32 v23, v23, 0, 13
	v_or_b32_e32 v24, 0x1000, v2
	v_lshl_or_b32 v22, v22, 9, 0x7c00
	v_cndmask_b32_e32 v19, 0x7c00, v19, vcc_lo
	v_cmp_eq_u32_e32 vcc_lo, 0x40f, v10
	v_cvt_f32_f16_e32 v11, v11
	s_mul_i32 s0, s5, 0x270
	s_delay_alu instid0(VALU_DEP_3) | instskip(SKIP_3) | instid1(VALU_DEP_3)
	v_cndmask_b32_e32 v10, v19, v22, vcc_lo
	v_lshrrev_b32_e32 v22, v23, v24
	v_add_co_u32 v26, vcc_lo, s2, v4
	v_add_co_ci_u32_e32 v27, vcc_lo, s3, v5, vcc_lo
	v_lshlrev_b32_e32 v4, v23, v22
	v_and_or_b32 v5, 0x1ff, v9, v8
	v_lshrrev_b32_e32 v19, 16, v1
	v_add_nc_u32_e32 v8, 0xfffffc10, v20
	v_lshlrev_b64 v[0:1], 2, v[16:17]
	v_cmp_ne_u32_e32 vcc_lo, v4, v24
	v_and_b32_e32 v16, 0xffff, v18
	v_lshrrev_b32_e32 v17, 8, v9
	v_bfe_u32 v18, v9, 20, 11
	v_and_or_b32 v10, 0x8000, v19, v10
	v_cndmask_b32_e64 v4, 0, 1, vcc_lo
	v_cmp_ne_u32_e32 vcc_lo, 0, v5
	v_lshl_or_b32 v19, v8, 12, v2
	s_mul_hi_u32 s2, s4, 0x270
	s_mul_i32 s3, s4, 0x270
	v_or_b32_e32 v4, v22, v4
	v_cndmask_b32_e64 v5, 0, 1, vcc_lo
	v_cmp_gt_i32_e32 vcc_lo, 1, v8
	v_lshl_or_b32 v22, v10, 16, v16
	s_add_i32 s2, s2, s0
	s_delay_alu instid0(VALU_DEP_3) | instskip(SKIP_3) | instid1(VALU_DEP_4)
	v_and_or_b32 v17, 0xffe, v17, v5
	v_sub_nc_u32_e32 v5, 0x3f1, v18
	v_cndmask_b32_e32 v19, v19, v4, vcc_lo
	v_add_co_u32 v0, vcc_lo, v26, v0
	v_or_b32_e32 v20, 0x1000, v17
	s_delay_alu instid0(VALU_DEP_4)
	v_med3_i32 v21, v5, 0, 13
	v_mul_f64 v[4:5], v[6:7], s[8:9]
	v_cvt_f64_f32_e32 v[6:7], v11
	v_and_b32_e32 v23, 7, v19
	ds_load_2addr_b32 v[10:11], v15 offset0:48 offset1:204
	v_lshrrev_b32_e32 v16, v21, v20
	v_add_co_ci_u32_e32 v1, vcc_lo, v27, v1, vcc_lo
	v_cmp_lt_i32_e32 vcc_lo, 5, v23
	v_cmp_eq_u32_e64 s0, 3, v23
	v_lshrrev_b32_e32 v19, 2, v19
	v_lshlrev_b32_e32 v15, v21, v16
	v_add_nc_u32_e32 v18, 0xfffffc10, v18
	v_lshrrev_b32_e32 v21, 16, v3
	s_or_b32 vcc_lo, s0, vcc_lo
	v_add_co_ci_u32_e32 v19, vcc_lo, 0, v19, vcc_lo
	v_cmp_ne_u32_e64 s1, v15, v20
	v_cmp_ne_u32_e32 vcc_lo, 0, v2
	s_delay_alu instid0(VALU_DEP_2)
	v_cndmask_b32_e64 v15, 0, 1, s1
	v_cndmask_b32_e64 v2, 0, 1, vcc_lo
	v_cmp_gt_i32_e32 vcc_lo, 31, v8
	s_waitcnt lgkmcnt(0)
	v_lshrrev_b32_e32 v20, 16, v10
	v_or_b32_e32 v15, v16, v15
	v_lshl_or_b32 v16, v18, 12, v17
	v_cndmask_b32_e32 v19, 0x7c00, v19, vcc_lo
	v_cmp_gt_i32_e32 vcc_lo, 1, v18
	v_lshl_or_b32 v2, v2, 9, 0x7c00
	s_delay_alu instid0(VALU_DEP_4) | instskip(SKIP_3) | instid1(VALU_DEP_4)
	v_cndmask_b32_e32 v15, v16, v15, vcc_lo
	v_mul_f16_e32 v16, v66, v20
	v_cmp_eq_u32_e32 vcc_lo, 0x40f, v8
	v_and_or_b32 v4, 0x1ff, v5, v4
	v_and_b32_e32 v8, 7, v15
	s_delay_alu instid0(VALU_DEP_4)
	v_fmac_f16_e32 v16, v63, v10
	v_cndmask_b32_e32 v19, v19, v2, vcc_lo
	v_mul_f64 v[2:3], v[6:7], s[8:9]
	v_cmp_ne_u32_e64 s1, 0, v4
	v_cmp_lt_i32_e32 vcc_lo, 5, v8
	v_cvt_f32_f16_e32 v6, v16
	v_cmp_eq_u32_e64 s0, 3, v8
	v_lshrrev_b32_e32 v8, 2, v15
	v_cndmask_b32_e64 v4, 0, 1, s1
	v_lshrrev_b32_e32 v15, 8, v5
	v_cvt_f64_f32_e32 v[6:7], v6
	v_bfe_u32 v16, v5, 20, 11
	s_or_b32 vcc_lo, s0, vcc_lo
	v_mul_f16_e32 v10, v66, v10
	v_and_or_b32 v4, 0xffe, v15, v4
	v_add_co_ci_u32_e32 v8, vcc_lo, 0, v8, vcc_lo
	v_sub_nc_u32_e32 v15, 0x3f1, v16
	v_cmp_ne_u32_e32 vcc_lo, 0, v17
	s_delay_alu instid0(VALU_DEP_4)
	v_or_b32_e32 v23, 0x1000, v4
	v_fma_f16 v10, v63, v20, -v10
	v_add_nc_u32_e32 v20, 0xfffffc10, v16
	v_med3_i32 v15, v15, 0, 13
	v_cndmask_b32_e64 v17, 0, 1, vcc_lo
	v_cmp_gt_i32_e32 vcc_lo, 31, v18
	v_cvt_f32_f16_e32 v10, v10
	v_and_or_b32 v19, 0x8000, v21, v19
	v_lshrrev_b32_e32 v24, v15, v23
	v_lshl_or_b32 v17, v17, 9, 0x7c00
	v_cndmask_b32_e32 v8, 0x7c00, v8, vcc_lo
	v_cmp_eq_u32_e32 vcc_lo, 0x40f, v18
	v_lshrrev_b32_e32 v18, 16, v9
	v_lshlrev_b32_e32 v15, v15, v24
	v_and_b32_e32 v19, 0xffff, v19
	v_cndmask_b32_e32 v17, v8, v17, vcc_lo
	v_add_co_u32 v8, vcc_lo, v0, s3
	v_add_co_ci_u32_e32 v9, vcc_lo, s2, v1, vcc_lo
	v_and_or_b32 v2, 0x1ff, v3, v2
	v_cmp_ne_u32_e32 vcc_lo, v15, v23
	v_and_or_b32 v17, 0x8000, v18, v17
	v_cvt_f64_f32_e32 v[15:16], v10
	v_lshrrev_b32_e32 v10, 8, v3
	v_bfe_u32 v21, v3, 20, 11
	v_cndmask_b32_e64 v18, 0, 1, vcc_lo
	v_cmp_ne_u32_e32 vcc_lo, 0, v2
	v_mul_f64 v[6:7], v[6:7], s[8:9]
	v_lshl_or_b32 v23, v20, 12, v4
	s_clause 0x1
	global_store_b32 v[0:1], v25, off
	global_store_b32 v[8:9], v22, off
	v_or_b32_e32 v18, v24, v18
	v_cndmask_b32_e64 v2, 0, 1, vcc_lo
	v_cmp_gt_i32_e32 vcc_lo, 1, v20
	v_lshl_or_b32 v17, v17, 16, v19
	v_lshrrev_b32_e32 v3, 16, v3
	s_delay_alu instid0(VALU_DEP_4) | instskip(SKIP_1) | instid1(VALU_DEP_1)
	v_and_or_b32 v2, 0xffe, v10, v2
	v_sub_nc_u32_e32 v10, 0x3f1, v21
	v_med3_i32 v10, v10, 0, 13
	v_bfe_u32 v24, v7, 20, 11
	v_cndmask_b32_e32 v18, v23, v18, vcc_lo
	v_or_b32_e32 v23, 0x1000, v2
	v_add_co_u32 v0, vcc_lo, v8, s3
	v_add_co_ci_u32_e32 v1, vcc_lo, s2, v9, vcc_lo
	s_delay_alu instid0(VALU_DEP_3)
	v_lshrrev_b32_e32 v22, v10, v23
	v_and_b32_e32 v19, 7, v18
	v_lshrrev_b32_e32 v9, 2, v18
	v_add_nc_u32_e32 v18, 0xfffffc10, v21
	v_and_or_b32 v6, 0x1ff, v7, v6
	v_lshlrev_b32_e32 v8, v10, v22
	v_cmp_lt_i32_e32 vcc_lo, 5, v19
	v_cmp_eq_u32_e64 s0, 3, v19
	v_lshrrev_b32_e32 v10, 16, v11
	global_store_b32 v[0:1], v17, off
	v_cmp_ne_u32_e64 s1, v8, v23
	v_lshl_or_b32 v23, v18, 12, v2
	s_or_b32 vcc_lo, s0, vcc_lo
	v_mul_f16_e32 v19, v64, v10
	v_add_co_ci_u32_e32 v21, vcc_lo, 0, v9, vcc_lo
	v_cndmask_b32_e64 v8, 0, 1, s1
	v_cmp_gt_i32_e32 vcc_lo, 31, v20
	s_delay_alu instid0(VALU_DEP_4)
	v_fmac_f16_e32 v19, v61, v11
	v_cmp_eq_u32_e64 s1, 0x40f, v20
	v_mul_f16_e32 v11, v64, v11
	v_or_b32_e32 v22, v22, v8
	v_cndmask_b32_e32 v21, 0x7c00, v21, vcc_lo
	v_cmp_gt_i32_e32 vcc_lo, 1, v18
	v_mul_f64 v[8:9], v[15:16], s[8:9]
	v_cvt_f32_f16_e32 v15, v19
	v_cndmask_b32_e32 v22, v23, v22, vcc_lo
	v_cmp_ne_u32_e32 vcc_lo, 0, v4
	s_delay_alu instid0(VALU_DEP_3)
	v_cvt_f64_f32_e32 v[15:16], v15
	v_lshrrev_b32_e32 v23, 8, v7
	v_lshrrev_b32_e32 v7, 16, v7
	v_and_b32_e32 v19, 7, v22
	v_cndmask_b32_e64 v4, 0, 1, vcc_lo
	v_cmp_ne_u32_e32 vcc_lo, 0, v6
	s_delay_alu instid0(VALU_DEP_3) | instskip(NEXT) | instid1(VALU_DEP_3)
	v_cmp_eq_u32_e64 s0, 3, v19
	v_lshl_or_b32 v4, v4, 9, 0x7c00
	v_cndmask_b32_e64 v6, 0, 1, vcc_lo
	v_cmp_lt_i32_e32 vcc_lo, 5, v19
	v_sub_nc_u32_e32 v19, 0x3f1, v24
	s_delay_alu instid0(VALU_DEP_4) | instskip(NEXT) | instid1(VALU_DEP_4)
	v_cndmask_b32_e64 v20, v21, v4, s1
	v_and_or_b32 v6, 0xffe, v23, v6
	v_lshrrev_b32_e32 v4, 2, v22
	s_delay_alu instid0(VALU_DEP_4)
	v_med3_i32 v19, v19, 0, 13
	s_or_b32 vcc_lo, s0, vcc_lo
	v_lshrrev_b32_e32 v23, 16, v5
	v_or_b32_e32 v21, 0x1000, v6
	v_add_co_ci_u32_e32 v4, vcc_lo, 0, v4, vcc_lo
	v_cmp_gt_i32_e32 vcc_lo, 31, v18
	s_delay_alu instid0(VALU_DEP_4) | instskip(NEXT) | instid1(VALU_DEP_4)
	v_and_or_b32 v20, 0x8000, v23, v20
	v_lshrrev_b32_e32 v22, v19, v21
	s_delay_alu instid0(VALU_DEP_4) | instskip(SKIP_1) | instid1(VALU_DEP_3)
	v_cndmask_b32_e32 v25, 0x7c00, v4, vcc_lo
	v_cmp_ne_u32_e32 vcc_lo, 0, v2
	v_lshlrev_b32_e32 v5, v19, v22
	v_fma_f16 v4, v61, v10, -v11
	v_and_or_b32 v8, 0x1ff, v9, v8
	v_add_nc_u32_e32 v19, 0xfffffc10, v24
	v_cndmask_b32_e64 v2, 0, 1, vcc_lo
	v_cmp_ne_u32_e32 vcc_lo, v5, v21
	v_cvt_f32_f16_e32 v4, v4
	v_lshrrev_b32_e32 v21, 8, v9
	v_bfe_u32 v24, v9, 20, 11
	v_lshl_or_b32 v2, v2, 9, 0x7c00
	v_cndmask_b32_e64 v10, 0, 1, vcc_lo
	v_cmp_ne_u32_e32 vcc_lo, 0, v8
	v_cvt_f64_f32_e32 v[4:5], v4
	v_lshrrev_b32_e32 v9, 16, v9
	s_delay_alu instid0(VALU_DEP_4)
	v_or_b32_e32 v22, v22, v10
	v_cndmask_b32_e64 v8, 0, 1, vcc_lo
	v_mul_f64 v[10:11], v[15:16], s[8:9]
	v_lshl_or_b32 v15, v19, 12, v6
	v_sub_nc_u32_e32 v16, 0x3f1, v24
	v_cmp_gt_i32_e32 vcc_lo, 1, v19
	v_and_or_b32 v8, 0xffe, v21, v8
	s_delay_alu instid0(VALU_DEP_3) | instskip(SKIP_1) | instid1(VALU_DEP_3)
	v_med3_i32 v16, v16, 0, 13
	v_cndmask_b32_e32 v21, v15, v22, vcc_lo
	v_or_b32_e32 v22, 0x1000, v8
	v_cmp_eq_u32_e32 vcc_lo, 0x40f, v18
	ds_load_2addr_b32 v[14:15], v14 offset0:40 offset1:196
	v_and_b32_e32 v23, 7, v21
	v_lshrrev_b32_e32 v18, v16, v22
	v_cndmask_b32_e32 v2, v25, v2, vcc_lo
	s_delay_alu instid0(VALU_DEP_3) | instskip(SKIP_1) | instid1(VALU_DEP_3)
	v_cmp_lt_i32_e32 vcc_lo, 5, v23
	v_cmp_eq_u32_e64 s0, 3, v23
	v_and_or_b32 v17, 0x8000, v3, v2
	v_lshlrev_b32_e32 v2, v16, v18
	v_lshrrev_b32_e32 v3, 2, v21
	v_and_b32_e32 v16, 0xffff, v20
	s_or_b32 vcc_lo, s0, vcc_lo
	v_add_nc_u32_e32 v20, 0xfffffc10, v24
	v_cmp_ne_u32_e64 s1, v2, v22
	v_add_co_ci_u32_e32 v21, vcc_lo, 0, v3, vcc_lo
	v_cmp_ne_u32_e32 vcc_lo, 0, v6
	s_delay_alu instid0(VALU_DEP_4) | instskip(NEXT) | instid1(VALU_DEP_4)
	v_lshl_or_b32 v23, v20, 12, v8
	v_cndmask_b32_e64 v2, 0, 1, s1
	s_waitcnt lgkmcnt(0)
	v_lshrrev_b32_e32 v22, 16, v14
	v_cmp_eq_u32_e64 s1, 0x40f, v19
	v_cndmask_b32_e64 v6, 0, 1, vcc_lo
	v_cmp_gt_i32_e32 vcc_lo, 1, v20
	v_or_b32_e32 v18, v18, v2
	v_mul_f64 v[2:3], v[4:5], s[8:9]
	v_mul_f16_e32 v4, v62, v22
	v_and_or_b32 v5, 0x1ff, v11, v10
	v_lshl_or_b32 v6, v6, 9, 0x7c00
	v_cndmask_b32_e32 v18, v23, v18, vcc_lo
	v_cmp_gt_i32_e32 vcc_lo, 31, v19
	v_fmac_f16_e32 v4, v59, v14
	v_lshrrev_b32_e32 v24, 8, v11
	v_bfe_u32 v25, v11, 20, 11
	v_lshrrev_b32_e32 v11, 16, v11
	v_cndmask_b32_e32 v10, 0x7c00, v21, vcc_lo
	v_cmp_ne_u32_e32 vcc_lo, 0, v5
	v_cvt_f32_f16_e32 v4, v4
	v_and_b32_e32 v21, 7, v18
	s_delay_alu instid0(VALU_DEP_4) | instskip(SKIP_1) | instid1(VALU_DEP_4)
	v_cndmask_b32_e64 v6, v10, v6, s1
	v_cndmask_b32_e64 v23, 0, 1, vcc_lo
	v_cvt_f64_f32_e32 v[4:5], v4
	s_delay_alu instid0(VALU_DEP_4)
	v_cmp_lt_i32_e32 vcc_lo, 5, v21
	v_cmp_eq_u32_e64 s0, 3, v21
	v_lshrrev_b32_e32 v10, 2, v18
	v_and_or_b32 v21, 0xffe, v24, v23
	v_sub_nc_u32_e32 v23, 0x3f1, v25
	v_lshl_or_b32 v24, v17, 16, v16
	s_or_b32 vcc_lo, s0, vcc_lo
	v_and_or_b32 v16, 0x8000, v7, v6
	v_add_co_ci_u32_e32 v10, vcc_lo, 0, v10, vcc_lo
	v_or_b32_e32 v18, 0x1000, v21
	v_med3_i32 v19, v23, 0, 13
	v_cmp_ne_u32_e32 vcc_lo, 0, v8
	v_mul_f16_e32 v7, v62, v14
	s_delay_alu instid0(VALU_DEP_3) | instskip(SKIP_2) | instid1(VALU_DEP_4)
	v_lshrrev_b32_e32 v23, v19, v18
	v_cndmask_b32_e64 v8, 0, 1, vcc_lo
	v_cmp_gt_i32_e32 vcc_lo, 31, v20
	v_fma_f16 v7, v59, v22, -v7
	v_and_or_b32 v2, 0x1ff, v3, v2
	v_lshlrev_b32_e32 v6, v19, v23
	v_lshl_or_b32 v8, v8, 9, 0x7c00
	v_cndmask_b32_e32 v10, 0x7c00, v10, vcc_lo
	v_cmp_eq_u32_e32 vcc_lo, 0x40f, v20
	v_bfe_u32 v14, v3, 20, 11
	s_delay_alu instid0(VALU_DEP_3) | instskip(SKIP_3) | instid1(VALU_DEP_4)
	v_cndmask_b32_e32 v8, v10, v8, vcc_lo
	v_cmp_ne_u32_e32 vcc_lo, v6, v18
	v_lshrrev_b32_e32 v10, 8, v3
	v_add_nc_u32_e32 v18, 0xfffffc10, v25
	v_and_or_b32 v8, 0x8000, v9, v8
	v_cndmask_b32_e64 v6, 0, 1, vcc_lo
	v_cmp_ne_u32_e32 vcc_lo, 0, v2
	v_mul_f64 v[4:5], v[4:5], s[8:9]
	v_lshl_or_b32 v19, v18, 12, v21
	v_and_b32_e32 v9, 0xffff, v16
	v_or_b32_e32 v17, v23, v6
	v_cndmask_b32_e64 v2, 0, 1, vcc_lo
	v_cvt_f32_f16_e32 v6, v7
	v_cmp_gt_i32_e32 vcc_lo, 1, v18
	s_delay_alu instid0(VALU_DEP_3) | instskip(SKIP_1) | instid1(VALU_DEP_4)
	v_and_or_b32 v2, 0xffe, v10, v2
	v_sub_nc_u32_e32 v10, 0x3f1, v14
	v_cvt_f64_f32_e32 v[6:7], v6
	v_cndmask_b32_e32 v16, v19, v17, vcc_lo
	v_add_co_u32 v0, vcc_lo, v0, s3
	v_or_b32_e32 v20, 0x1000, v2
	v_med3_i32 v10, v10, 0, 13
	v_add_co_ci_u32_e32 v1, vcc_lo, s2, v1, vcc_lo
	v_and_b32_e32 v22, 7, v16
	v_lshl_or_b32 v19, v8, 16, v9
	s_delay_alu instid0(VALU_DEP_4) | instskip(SKIP_2) | instid1(VALU_DEP_3)
	v_lshrrev_b32_e32 v17, v10, v20
	v_add_co_u32 v8, vcc_lo, v0, s3
	v_add_co_ci_u32_e32 v9, vcc_lo, s2, v1, vcc_lo
	v_lshlrev_b32_e32 v10, v10, v17
	v_cmp_lt_i32_e32 vcc_lo, 5, v22
	v_cmp_eq_u32_e64 s0, 3, v22
	v_lshrrev_b32_e32 v16, 2, v16
	v_add_nc_u32_e32 v14, 0xfffffc10, v14
	v_cmp_ne_u32_e64 s1, v10, v20
	v_lshrrev_b32_e32 v20, 16, v15
	s_or_b32 vcc_lo, s0, vcc_lo
	v_add_co_ci_u32_e32 v16, vcc_lo, 0, v16, vcc_lo
	s_delay_alu instid0(VALU_DEP_3)
	v_cndmask_b32_e64 v10, 0, 1, s1
	v_cmp_ne_u32_e32 vcc_lo, 0, v21
	v_mul_f16_e32 v22, v60, v20
	v_and_or_b32 v4, 0x1ff, v5, v4
	v_lshrrev_b32_e32 v25, 8, v5
	v_or_b32_e32 v10, v17, v10
	v_lshl_or_b32 v17, v14, 12, v2
	v_cndmask_b32_e64 v21, 0, 1, vcc_lo
	v_cmp_gt_i32_e32 vcc_lo, 1, v14
	v_fmac_f16_e32 v22, v58, v15
	v_bfe_u32 v26, v5, 20, 11
	v_mul_f16_e32 v15, v60, v15
	v_mul_f64 v[6:7], v[6:7], s[8:9]
	v_cndmask_b32_e32 v10, v17, v10, vcc_lo
	v_cmp_gt_i32_e32 vcc_lo, 31, v18
	v_lshl_or_b32 v21, v21, 9, 0x7c00
	v_fma_f16 v15, v58, v20, -v15
	v_cndmask_b32_e32 v23, 0x7c00, v16, vcc_lo
	v_cvt_f32_f16_e32 v16, v22
	v_cmp_ne_u32_e32 vcc_lo, 0, v4
	v_and_b32_e32 v22, 7, v10
	v_lshrrev_b32_e32 v10, 2, v10
	v_cvt_f32_f16_e32 v15, v15
	v_cvt_f64_f32_e32 v[16:17], v16
	v_cndmask_b32_e64 v4, 0, 1, vcc_lo
	v_cmp_eq_u32_e32 vcc_lo, 0x40f, v18
	v_cmp_eq_u32_e64 s0, 3, v22
	s_delay_alu instid0(VALU_DEP_3) | instskip(SKIP_3) | instid1(VALU_DEP_4)
	v_and_or_b32 v4, 0xffe, v25, v4
	v_cndmask_b32_e32 v18, v23, v21, vcc_lo
	v_cmp_lt_i32_e32 vcc_lo, 5, v22
	v_sub_nc_u32_e32 v21, 0x3f1, v26
	v_or_b32_e32 v22, 0x1000, v4
	s_delay_alu instid0(VALU_DEP_4) | instskip(SKIP_1) | instid1(VALU_DEP_3)
	v_and_or_b32 v18, 0x8000, v11, v18
	s_or_b32 vcc_lo, s0, vcc_lo
	v_med3_i32 v21, v21, 0, 13
	v_add_co_ci_u32_e32 v10, vcc_lo, 0, v10, vcc_lo
	v_cmp_ne_u32_e32 vcc_lo, 0, v2
	v_and_b32_e32 v18, 0xffff, v18
	s_delay_alu instid0(VALU_DEP_4) | instskip(SKIP_3) | instid1(VALU_DEP_3)
	v_lshrrev_b32_e32 v20, v21, v22
	v_cndmask_b32_e64 v2, 0, 1, vcc_lo
	v_cmp_gt_i32_e32 vcc_lo, 31, v14
	v_lshrrev_b32_e32 v25, 8, v7
	v_lshl_or_b32 v2, v2, 9, 0x7c00
	v_cndmask_b32_e32 v23, 0x7c00, v10, vcc_lo
	v_cvt_f64_f32_e32 v[10:11], v15
	v_lshlrev_b32_e32 v15, v21, v20
	v_cmp_eq_u32_e32 vcc_lo, 0x40f, v14
	ds_load_2addr_b32 v[13:14], v13 offset0:96 offset1:252
	s_clause 0x1
	global_store_b32 v[0:1], v24, off
	global_store_b32 v[8:9], v19, off
	v_cndmask_b32_e32 v21, v23, v2, vcc_lo
	v_and_or_b32 v2, 0x1ff, v7, v6
	v_cmp_ne_u32_e32 vcc_lo, v15, v22
	v_lshrrev_b32_e32 v6, 16, v3
	v_add_nc_u32_e32 v22, 0xfffffc10, v26
	v_bfe_u32 v26, v7, 20, 11
	v_lshrrev_b32_e32 v7, 16, v7
	v_cndmask_b32_e64 v15, 0, 1, vcc_lo
	v_cmp_ne_u32_e32 vcc_lo, 0, v2
	v_mul_f64 v[2:3], v[16:17], s[8:9]
	v_lshl_or_b32 v16, v22, 12, v4
	v_and_or_b32 v6, 0x8000, v6, v21
	v_or_b32_e32 v15, v20, v15
	v_cndmask_b32_e64 v23, 0, 1, vcc_lo
	v_sub_nc_u32_e32 v20, 0x3f1, v26
	v_cmp_gt_i32_e32 vcc_lo, 1, v22
	v_lshl_or_b32 v6, v6, 16, v18
	s_waitcnt lgkmcnt(0)
	v_lshrrev_b32_e32 v21, 16, v13
	v_and_or_b32 v17, 0xffe, v25, v23
	v_med3_i32 v20, v20, 0, 13
	v_cndmask_b32_e32 v15, v16, v15, vcc_lo
	v_add_co_u32 v0, vcc_lo, v8, s3
	s_delay_alu instid0(VALU_DEP_4) | instskip(SKIP_1) | instid1(VALU_DEP_4)
	v_or_b32_e32 v16, 0x1000, v17
	v_add_co_ci_u32_e32 v1, vcc_lo, s2, v9, vcc_lo
	v_and_b32_e32 v18, 7, v15
	s_delay_alu instid0(VALU_DEP_3)
	v_lshrrev_b32_e32 v19, v20, v16
	global_store_b32 v[0:1], v6, off
	v_cmp_lt_i32_e32 vcc_lo, 5, v18
	v_cmp_eq_u32_e64 s0, 3, v18
	v_lshlrev_b32_e32 v20, v20, v19
	v_mul_f64 v[8:9], v[10:11], s[8:9]
	v_lshrrev_b32_e32 v11, 2, v15
	v_mul_f16_e32 v10, v57, v21
	s_or_b32 vcc_lo, s0, vcc_lo
	v_cmp_ne_u32_e64 s1, v20, v16
	v_add_nc_u32_e32 v16, 0xfffffc10, v26
	v_add_co_ci_u32_e32 v18, vcc_lo, 0, v11, vcc_lo
	v_cmp_ne_u32_e32 vcc_lo, 0, v4
	s_delay_alu instid0(VALU_DEP_4) | instskip(SKIP_3) | instid1(VALU_DEP_4)
	v_cndmask_b32_e64 v15, 0, 1, s1
	v_fmac_f16_e32 v10, v56, v13
	v_mul_f16_e32 v13, v57, v13
	v_and_or_b32 v2, 0x1ff, v3, v2
	v_or_b32_e32 v15, v19, v15
	v_lshl_or_b32 v19, v16, 12, v17
	v_cndmask_b32_e64 v4, 0, 1, vcc_lo
	v_cmp_gt_i32_e32 vcc_lo, 1, v16
	v_cvt_f32_f16_e32 v10, v10
	v_bfe_u32 v20, v3, 20, 11
	v_fma_f16 v13, v56, v21, -v13
	v_lshl_or_b32 v4, v4, 9, 0x7c00
	v_cndmask_b32_e32 v15, v19, v15, vcc_lo
	v_cmp_ne_u32_e32 vcc_lo, 0, v2
	v_cvt_f64_f32_e32 v[10:11], v10
	v_lshrrev_b32_e32 v19, 8, v3
	v_cvt_f32_f16_e32 v13, v13
	v_and_b32_e32 v23, 7, v15
	v_cndmask_b32_e64 v2, 0, 1, vcc_lo
	v_cmp_gt_i32_e32 vcc_lo, 31, v22
	v_lshrrev_b32_e32 v3, 16, v3
	s_delay_alu instid0(VALU_DEP_4) | instskip(NEXT) | instid1(VALU_DEP_4)
	v_cmp_eq_u32_e64 s0, 3, v23
	v_and_or_b32 v2, 0xffe, v19, v2
	v_cndmask_b32_e32 v18, 0x7c00, v18, vcc_lo
	v_sub_nc_u32_e32 v19, 0x3f1, v20
	v_cmp_eq_u32_e32 vcc_lo, 0x40f, v22
	v_lshrrev_b32_e32 v22, 16, v5
	v_lshrrev_b32_e32 v5, 2, v15
	v_and_or_b32 v8, 0x1ff, v9, v8
	v_med3_i32 v19, v19, 0, 13
	v_cndmask_b32_e32 v18, v18, v4, vcc_lo
	v_or_b32_e32 v4, 0x1000, v2
	v_cmp_lt_i32_e32 vcc_lo, 5, v23
	v_bfe_u32 v21, v9, 20, 11
	v_add_nc_u32_e32 v20, 0xfffffc10, v20
	v_and_or_b32 v6, 0x8000, v22, v18
	v_lshrrev_b32_e32 v15, v19, v4
	s_or_b32 vcc_lo, s0, vcc_lo
	v_add_nc_u32_e32 v18, 0xfffffc10, v21
	v_add_co_ci_u32_e32 v23, vcc_lo, 0, v5, vcc_lo
	s_delay_alu instid0(VALU_DEP_3) | instskip(SKIP_3) | instid1(VALU_DEP_4)
	v_lshlrev_b32_e32 v5, v19, v15
	v_cmp_ne_u32_e32 vcc_lo, 0, v8
	v_lshrrev_b32_e32 v19, 8, v9
	v_cndmask_b32_e64 v8, 0, 1, vcc_lo
	v_cmp_ne_u32_e32 vcc_lo, v5, v4
	v_mul_f64 v[4:5], v[10:11], s[8:9]
	s_delay_alu instid0(VALU_DEP_3)
	v_and_or_b32 v8, 0xffe, v19, v8
	v_cndmask_b32_e64 v24, 0, 1, vcc_lo
	v_cmp_ne_u32_e32 vcc_lo, 0, v17
	v_sub_nc_u32_e32 v19, 0x3f1, v21
	v_cvt_f64_f32_e32 v[10:11], v13
	v_lshl_or_b32 v17, v20, 12, v2
	v_or_b32_e32 v15, v15, v24
	v_cndmask_b32_e64 v13, 0, 1, vcc_lo
	v_cmp_gt_i32_e32 vcc_lo, 31, v16
	v_or_b32_e32 v24, 0x1000, v8
	v_med3_i32 v19, v19, 0, 13
	s_delay_alu instid0(VALU_DEP_4)
	v_lshl_or_b32 v13, v13, 9, 0x7c00
	v_cndmask_b32_e32 v23, 0x7c00, v23, vcc_lo
	v_cmp_gt_i32_e32 vcc_lo, 1, v20
	v_cndmask_b32_e32 v15, v17, v15, vcc_lo
	v_lshrrev_b32_e32 v17, v19, v24
	v_cmp_eq_u32_e32 vcc_lo, 0x40f, v16
	s_delay_alu instid0(VALU_DEP_3) | instskip(NEXT) | instid1(VALU_DEP_3)
	v_and_b32_e32 v16, 7, v15
	v_lshlrev_b32_e32 v19, v19, v17
	v_cndmask_b32_e32 v13, v23, v13, vcc_lo
	s_delay_alu instid0(VALU_DEP_3) | instskip(NEXT) | instid1(VALU_DEP_3)
	v_cmp_lt_i32_e32 vcc_lo, 5, v16
	v_cmp_ne_u32_e64 s0, v19, v24
	s_delay_alu instid0(VALU_DEP_3) | instskip(SKIP_1) | instid1(VALU_DEP_3)
	v_and_or_b32 v13, 0x8000, v7, v13
	v_lshrrev_b32_e32 v19, 16, v14
	v_cndmask_b32_e64 v7, 0, 1, s0
	v_cmp_eq_u32_e64 s0, 3, v16
	v_and_b32_e32 v16, 0xffff, v6
	v_lshrrev_b32_e32 v6, 2, v15
	v_lshl_or_b32 v15, v18, 12, v8
	v_or_b32_e32 v7, v17, v7
	s_or_b32 vcc_lo, s0, vcc_lo
	v_and_or_b32 v4, 0x1ff, v5, v4
	v_add_co_ci_u32_e32 v17, vcc_lo, 0, v6, vcc_lo
	v_cmp_ne_u32_e32 vcc_lo, 0, v2
	v_lshrrev_b32_e32 v21, 8, v5
	v_bfe_u32 v22, v5, 20, 11
	v_lshl_or_b32 v16, v13, 16, v16
	v_lshrrev_b32_e32 v5, 16, v5
	v_cndmask_b32_e64 v2, 0, 1, vcc_lo
	v_cmp_gt_i32_e32 vcc_lo, 1, v18
	s_delay_alu instid0(VALU_DEP_2)
	v_lshl_or_b32 v2, v2, 9, 0x7c00
	v_cndmask_b32_e32 v15, v15, v7, vcc_lo
	v_mul_f64 v[6:7], v[10:11], s[8:9]
	v_cmp_gt_i32_e32 vcc_lo, 31, v20
	v_mul_f16_e32 v11, v55, v19
	v_cndmask_b32_e32 v10, 0x7c00, v17, vcc_lo
	v_cmp_ne_u32_e32 vcc_lo, 0, v4
	v_and_b32_e32 v17, 7, v15
	v_lshrrev_b32_e32 v15, 2, v15
	v_fmac_f16_e32 v11, v54, v14
	v_cndmask_b32_e64 v4, 0, 1, vcc_lo
	v_cmp_eq_u32_e32 vcc_lo, 0x40f, v20
	v_cmp_eq_u32_e64 s0, 3, v17
	v_sub_nc_u32_e32 v20, 0x3f1, v22
	s_delay_alu instid0(VALU_DEP_4) | instskip(SKIP_2) | instid1(VALU_DEP_4)
	v_and_or_b32 v4, 0xffe, v21, v4
	v_cndmask_b32_e32 v2, v10, v2, vcc_lo
	v_cmp_lt_i32_e32 vcc_lo, 5, v17
	v_med3_i32 v20, v20, 0, 13
	v_cvt_f32_f16_e32 v10, v11
	v_or_b32_e32 v17, 0x1000, v4
	v_and_or_b32 v23, 0x8000, v3, v2
	s_or_b32 vcc_lo, s0, vcc_lo
	v_mul_f16_e32 v2, v55, v14
	v_add_co_ci_u32_e32 v15, vcc_lo, 0, v15, vcc_lo
	v_cmp_ne_u32_e32 vcc_lo, 0, v8
	v_lshrrev_b32_e32 v21, v20, v17
	v_cvt_f64_f32_e32 v[10:11], v10
	v_fma_f16 v2, v54, v19, -v2
	v_cndmask_b32_e64 v8, 0, 1, vcc_lo
	v_cmp_gt_i32_e32 vcc_lo, 31, v18
	v_lshlrev_b32_e32 v3, v20, v21
	s_delay_alu instid0(VALU_DEP_4) | instskip(NEXT) | instid1(VALU_DEP_4)
	v_cvt_f32_f16_e32 v2, v2
	v_lshl_or_b32 v8, v8, 9, 0x7c00
	v_cndmask_b32_e32 v15, 0x7c00, v15, vcc_lo
	v_cmp_eq_u32_e32 vcc_lo, 0x40f, v18
	v_and_or_b32 v6, 0x1ff, v7, v6
	v_bfe_u32 v18, v7, 20, 11
	s_delay_alu instid0(VALU_DEP_4)
	v_cndmask_b32_e32 v14, v15, v8, vcc_lo
	v_cmp_ne_u32_e32 vcc_lo, v3, v17
	v_add_nc_u32_e32 v17, 0xfffffc10, v22
	v_lshrrev_b32_e32 v15, 16, v9
	v_lshrrev_b32_e32 v9, 8, v7
	v_cvt_f64_f32_e32 v[2:3], v2
	v_cndmask_b32_e64 v8, 0, 1, vcc_lo
	v_cmp_ne_u32_e32 vcc_lo, 0, v6
	v_lshl_or_b32 v20, v17, 12, v4
	v_and_or_b32 v13, 0x8000, v15, v14
	v_and_b32_e32 v14, 0xffff, v23
	v_or_b32_e32 v19, v21, v8
	v_cndmask_b32_e64 v6, 0, 1, vcc_lo
	v_cmp_gt_i32_e32 vcc_lo, 1, v17
	s_delay_alu instid0(VALU_DEP_4) | instskip(NEXT) | instid1(VALU_DEP_3)
	v_lshl_or_b32 v22, v13, 16, v14
	v_and_or_b32 v6, 0xffe, v9, v6
	ds_load_2addr_b32 v[8:9], v12 offset0:24 offset1:180
	v_sub_nc_u32_e32 v12, 0x3f1, v18
	v_cndmask_b32_e32 v19, v20, v19, vcc_lo
	v_add_co_u32 v0, vcc_lo, v0, s3
	v_or_b32_e32 v20, 0x1000, v6
	s_delay_alu instid0(VALU_DEP_4) | instskip(NEXT) | instid1(VALU_DEP_4)
	v_med3_i32 v12, v12, 0, 13
	v_and_b32_e32 v15, 7, v19
	v_add_co_ci_u32_e32 v1, vcc_lo, s2, v1, vcc_lo
	v_lshrrev_b32_e32 v13, 2, v19
	s_delay_alu instid0(VALU_DEP_4) | instskip(NEXT) | instid1(VALU_DEP_4)
	v_lshrrev_b32_e32 v21, v12, v20
	v_cmp_lt_i32_e32 vcc_lo, 5, v15
	v_cmp_eq_u32_e64 s0, 3, v15
	v_mul_f64 v[10:11], v[10:11], s[8:9]
	v_add_nc_u32_e32 v18, 0xfffffc10, v18
	v_lshlrev_b32_e32 v12, v12, v21
	s_delay_alu instid0(VALU_DEP_4) | instskip(SKIP_2) | instid1(VALU_DEP_2)
	s_or_b32 vcc_lo, s0, vcc_lo
	s_waitcnt lgkmcnt(0)
	v_lshrrev_b32_e32 v23, 16, v8
	v_cmp_ne_u32_e64 s1, v12, v20
	v_add_co_ci_u32_e32 v13, vcc_lo, 0, v13, vcc_lo
	v_cmp_ne_u32_e32 vcc_lo, 0, v4
	s_delay_alu instid0(VALU_DEP_4) | instskip(NEXT) | instid1(VALU_DEP_4)
	v_mul_f16_e32 v14, v53, v23
	v_cndmask_b32_e64 v12, 0, 1, s1
	v_lshl_or_b32 v15, v18, 12, v6
	v_mul_f64 v[2:3], v[2:3], s[8:9]
	v_cndmask_b32_e64 v4, 0, 1, vcc_lo
	v_fmac_f16_e32 v14, v52, v8
	v_or_b32_e32 v12, v21, v12
	v_cmp_gt_i32_e32 vcc_lo, 1, v18
	s_delay_alu instid0(VALU_DEP_4) | instskip(NEXT) | instid1(VALU_DEP_3)
	v_lshl_or_b32 v4, v4, 9, 0x7c00
	v_cndmask_b32_e32 v19, v15, v12, vcc_lo
	v_cvt_f32_f16_e32 v12, v14
	v_cmp_gt_i32_e32 vcc_lo, 31, v17
	s_delay_alu instid0(VALU_DEP_3)
	v_and_b32_e32 v21, 7, v19
	v_lshrrev_b32_e32 v19, 2, v19
	v_cndmask_b32_e32 v20, 0x7c00, v13, vcc_lo
	v_cvt_f64_f32_e32 v[12:13], v12
	v_add_co_u32 v14, vcc_lo, v0, s3
	v_add_co_ci_u32_e32 v15, vcc_lo, s2, v1, vcc_lo
	v_cmp_eq_u32_e32 vcc_lo, 0x40f, v17
	global_store_b32 v[0:1], v16, off
	global_store_b32 v[14:15], v22, off
	v_and_or_b32 v10, 0x1ff, v11, v10
	v_lshrrev_b32_e32 v17, 8, v11
	v_cndmask_b32_e32 v4, v20, v4, vcc_lo
	v_cmp_lt_i32_e32 vcc_lo, 5, v21
	v_bfe_u32 v20, v11, 20, 11
	v_cmp_ne_u32_e64 s0, 0, v10
	v_lshrrev_b32_e32 v11, 16, v11
	v_and_or_b32 v24, 0x8000, v5, v4
	s_delay_alu instid0(VALU_DEP_3) | instskip(SKIP_2) | instid1(VALU_DEP_3)
	v_cndmask_b32_e64 v10, 0, 1, s0
	v_cmp_eq_u32_e64 s0, 3, v21
	v_and_or_b32 v2, 0x1ff, v3, v2
	v_and_or_b32 v10, 0xffe, v17, v10
	s_delay_alu instid0(VALU_DEP_3) | instskip(SKIP_4) | instid1(VALU_DEP_4)
	s_or_b32 vcc_lo, s0, vcc_lo
	v_sub_nc_u32_e32 v17, 0x3f1, v20
	v_add_co_ci_u32_e32 v19, vcc_lo, 0, v19, vcc_lo
	v_cmp_ne_u32_e32 vcc_lo, 0, v6
	v_or_b32_e32 v21, 0x1000, v10
	v_med3_i32 v17, v17, 0, 13
	v_add_nc_u32_e32 v20, 0xfffffc10, v20
	v_cndmask_b32_e64 v6, 0, 1, vcc_lo
	v_cmp_gt_i32_e32 vcc_lo, 31, v18
	s_delay_alu instid0(VALU_DEP_4) | instskip(NEXT) | instid1(VALU_DEP_4)
	v_lshrrev_b32_e32 v25, v17, v21
	v_cmp_eq_u32_e64 s1, 0x40f, v20
	v_mul_f64 v[4:5], v[12:13], s[8:9]
	v_cndmask_b32_e32 v19, 0x7c00, v19, vcc_lo
	v_lshl_or_b32 v6, v6, 9, 0x7c00
	v_cmp_eq_u32_e32 vcc_lo, 0x40f, v18
	v_lshl_or_b32 v13, v20, 12, v10
	s_delay_alu instid0(VALU_DEP_3)
	v_cndmask_b32_e32 v18, v19, v6, vcc_lo
	v_lshlrev_b32_e32 v6, v17, v25
	v_cmp_ne_u32_e32 vcc_lo, 0, v2
	v_lshrrev_b32_e32 v19, 16, v7
	v_mul_f16_e32 v7, v53, v8
	v_lshrrev_b32_e32 v8, 8, v3
	v_bfe_u32 v17, v3, 20, 11
	v_cndmask_b32_e64 v2, 0, 1, vcc_lo
	v_cmp_ne_u32_e32 vcc_lo, v6, v21
	v_fma_f16 v7, v52, v23, -v7
	v_and_or_b32 v18, 0x8000, v19, v18
	v_and_b32_e32 v19, 0xffff, v24
	v_and_or_b32 v2, 0xffe, v8, v2
	v_cndmask_b32_e64 v6, 0, 1, vcc_lo
	v_sub_nc_u32_e32 v8, 0x3f1, v17
	v_cvt_f32_f16_e32 v7, v7
	v_cmp_gt_i32_e32 vcc_lo, 1, v20
	v_or_b32_e32 v21, 0x1000, v2
	v_or_b32_e32 v12, v25, v6
	v_med3_i32 v8, v8, 0, 13
	v_cvt_f64_f32_e32 v[6:7], v7
	v_lshl_or_b32 v16, v18, 16, v19
	v_lshrrev_b32_e32 v3, 16, v3
	v_bfe_u32 v19, v5, 20, 11
	v_cndmask_b32_e32 v12, v13, v12, vcc_lo
	v_lshrrev_b32_e32 v13, v8, v21
	v_add_co_u32 v0, vcc_lo, v14, s3
	v_add_co_ci_u32_e32 v1, vcc_lo, s2, v15, vcc_lo
	s_delay_alu instid0(VALU_DEP_3)
	v_lshlrev_b32_e32 v8, v8, v13
	v_and_b32_e32 v18, 7, v12
	v_lshrrev_b32_e32 v14, 16, v9
	v_lshrrev_b32_e32 v12, 2, v12
	v_add_nc_u32_e32 v15, 0xfffffc10, v17
	v_cmp_ne_u32_e64 s0, v8, v21
	v_cmp_lt_i32_e32 vcc_lo, 5, v18
	v_mul_f16_e32 v17, v51, v14
	v_and_or_b32 v4, 0x1ff, v5, v4
	s_delay_alu instid0(VALU_DEP_4) | instskip(SKIP_1) | instid1(VALU_DEP_4)
	v_cndmask_b32_e64 v8, 0, 1, s0
	v_cmp_eq_u32_e64 s0, 3, v18
	v_fmac_f16_e32 v17, v49, v9
	s_delay_alu instid0(VALU_DEP_3) | instskip(NEXT) | instid1(VALU_DEP_3)
	v_or_b32_e32 v8, v13, v8
	s_or_b32 vcc_lo, s0, vcc_lo
	v_lshl_or_b32 v13, v15, 12, v2
	v_add_co_ci_u32_e32 v18, vcc_lo, 0, v12, vcc_lo
	v_cmp_gt_i32_e32 vcc_lo, 1, v15
	v_cvt_f32_f16_e32 v12, v17
	v_lshrrev_b32_e32 v17, 8, v5
	v_mul_f64 v[6:7], v[6:7], s[8:9]
	v_cndmask_b32_e32 v8, v13, v8, vcc_lo
	v_cmp_ne_u32_e32 vcc_lo, 0, v4
	v_cvt_f64_f32_e32 v[12:13], v12
	s_delay_alu instid0(VALU_DEP_3) | instskip(SKIP_3) | instid1(VALU_DEP_4)
	v_and_b32_e32 v21, 7, v8
	v_cndmask_b32_e64 v4, 0, 1, vcc_lo
	v_cmp_ne_u32_e32 vcc_lo, 0, v10
	v_lshrrev_b32_e32 v8, 2, v8
	v_cmp_eq_u32_e64 s0, 3, v21
	s_delay_alu instid0(VALU_DEP_4) | instskip(SKIP_3) | instid1(VALU_DEP_4)
	v_and_or_b32 v4, 0xffe, v17, v4
	v_cndmask_b32_e64 v10, 0, 1, vcc_lo
	v_cmp_gt_i32_e32 vcc_lo, 31, v20
	v_sub_nc_u32_e32 v17, 0x3f1, v19
	v_or_b32_e32 v22, 0x1000, v4
	s_delay_alu instid0(VALU_DEP_4) | instskip(SKIP_3) | instid1(VALU_DEP_3)
	v_lshl_or_b32 v10, v10, 9, 0x7c00
	v_cndmask_b32_e32 v18, 0x7c00, v18, vcc_lo
	v_cmp_lt_i32_e32 vcc_lo, 5, v21
	v_med3_i32 v17, v17, 0, 13
	v_cndmask_b32_e64 v10, v18, v10, s1
	s_or_b32 vcc_lo, s0, vcc_lo
	s_delay_alu instid0(VALU_DEP_2)
	v_lshrrev_b32_e32 v18, v17, v22
	v_add_co_ci_u32_e32 v8, vcc_lo, 0, v8, vcc_lo
	v_cmp_ne_u32_e32 vcc_lo, 0, v2
	v_and_or_b32 v10, 0x8000, v11, v10
	v_cndmask_b32_e64 v2, 0, 1, vcc_lo
	v_cmp_gt_i32_e32 vcc_lo, 31, v15
	v_lshlrev_b32_e32 v17, v17, v18
	v_and_or_b32 v6, 0x1ff, v7, v6
	v_and_b32_e32 v10, 0xffff, v10
	v_lshl_or_b32 v2, v2, 9, 0x7c00
	v_cndmask_b32_e32 v8, 0x7c00, v8, vcc_lo
	v_cmp_ne_u32_e32 vcc_lo, v17, v22
	ds_load_b32 v17, v47 offset:7488
	v_cndmask_b32_e64 v11, 0, 1, vcc_lo
	v_cmp_eq_u32_e32 vcc_lo, 0x40f, v15
	v_add_nc_u32_e32 v15, 0xfffffc10, v19
	s_delay_alu instid0(VALU_DEP_3)
	v_or_b32_e32 v11, v18, v11
	v_mul_f16_e32 v18, v51, v9
	v_cndmask_b32_e32 v2, v8, v2, vcc_lo
	v_mul_f64 v[8:9], v[12:13], s[8:9]
	v_lshl_or_b32 v12, v15, 12, v4
	v_cmp_gt_i32_e32 vcc_lo, 1, v15
	v_fma_f16 v13, v49, v14, -v18
	v_bfe_u32 v14, v7, 20, 11
	v_and_or_b32 v18, 0x8000, v3, v2
	v_cndmask_b32_e32 v11, v12, v11, vcc_lo
	v_cmp_ne_u32_e32 vcc_lo, 0, v6
	v_cvt_f32_f16_e32 v12, v13
	v_lshrrev_b32_e32 v13, 8, v7
	v_lshl_or_b32 v18, v18, 16, v10
	v_and_b32_e32 v19, 7, v11
	v_cndmask_b32_e64 v6, 0, 1, vcc_lo
	v_cvt_f64_f32_e32 v[2:3], v12
	v_sub_nc_u32_e32 v12, 0x3f1, v14
	v_lshrrev_b32_e32 v10, 2, v11
	v_cmp_lt_i32_e32 vcc_lo, 5, v19
	v_and_or_b32 v6, 0xffe, v13, v6
	s_waitcnt lgkmcnt(0)
	v_lshrrev_b32_e32 v13, 16, v17
	v_cmp_eq_u32_e64 s0, 3, v19
	v_med3_i32 v12, v12, 0, 13
	v_add_nc_u32_e32 v14, 0xfffffc10, v14
	v_or_b32_e32 v20, 0x1000, v6
	v_mul_f16_e32 v21, v50, v13
	s_or_b32 vcc_lo, s0, vcc_lo
	v_add_co_ci_u32_e32 v10, vcc_lo, 0, v10, vcc_lo
	s_delay_alu instid0(VALU_DEP_3) | instskip(NEXT) | instid1(VALU_DEP_3)
	v_lshrrev_b32_e32 v19, v12, v20
	v_fmac_f16_e32 v21, v48, v17
	v_cmp_ne_u32_e32 vcc_lo, 0, v4
	v_mul_f16_e32 v17, v50, v17
	s_delay_alu instid0(VALU_DEP_4) | instskip(NEXT) | instid1(VALU_DEP_4)
	v_lshlrev_b32_e32 v12, v12, v19
	v_cvt_f32_f16_e32 v11, v21
	v_cndmask_b32_e64 v4, 0, 1, vcc_lo
	v_cmp_gt_i32_e32 vcc_lo, 31, v15
	v_and_or_b32 v8, 0x1ff, v9, v8
	v_fma_f16 v13, v48, v13, -v17
	v_lshl_or_b32 v17, v14, 12, v6
	v_lshl_or_b32 v4, v4, 9, 0x7c00
	v_cndmask_b32_e32 v21, 0x7c00, v10, vcc_lo
	v_cvt_f64_f32_e32 v[10:11], v11
	v_cmp_ne_u32_e32 vcc_lo, v12, v20
	v_lshrrev_b32_e32 v20, 8, v9
	v_cvt_f32_f16_e32 v13, v13
	v_cndmask_b32_e64 v12, 0, 1, vcc_lo
	v_cmp_ne_u32_e32 vcc_lo, 0, v8
	v_mul_f64 v[2:3], v[2:3], s[8:9]
	s_delay_alu instid0(VALU_DEP_3) | instskip(SKIP_4) | instid1(VALU_DEP_4)
	v_or_b32_e32 v12, v19, v12
	v_cndmask_b32_e64 v8, 0, 1, vcc_lo
	v_bfe_u32 v19, v9, 20, 11
	v_cmp_gt_i32_e32 vcc_lo, 1, v14
	v_lshrrev_b32_e32 v9, 16, v9
	v_and_or_b32 v8, 0xffe, v20, v8
	s_delay_alu instid0(VALU_DEP_4)
	v_sub_nc_u32_e32 v20, 0x3f1, v19
	v_add_nc_u32_e32 v19, 0xfffffc10, v19
	v_cndmask_b32_e32 v17, v17, v12, vcc_lo
	v_cmp_eq_u32_e32 vcc_lo, 0x40f, v15
	v_or_b32_e32 v22, 0x1000, v8
	v_med3_i32 v20, v20, 0, 13
	v_cvt_f64_f32_e32 v[12:13], v13
	v_and_b32_e32 v23, 7, v17
	v_cndmask_b32_e32 v15, v21, v4, vcc_lo
	v_add_co_u32 v4, vcc_lo, v0, s3
	v_lshrrev_b32_e32 v24, v20, v22
	v_lshrrev_b32_e32 v21, 16, v5
	v_add_co_ci_u32_e32 v5, vcc_lo, s2, v1, vcc_lo
	v_cmp_lt_i32_e32 vcc_lo, 5, v23
	v_cmp_eq_u32_e64 s0, 3, v23
	v_lshrrev_b32_e32 v17, 2, v17
	v_lshlrev_b32_e32 v20, v20, v24
	v_and_or_b32 v15, 0x8000, v21, v15
	v_mul_f64 v[10:11], v[10:11], s[8:9]
	s_or_b32 vcc_lo, s0, vcc_lo
	v_lshl_or_b32 v21, v19, 12, v8
	v_add_co_ci_u32_e32 v17, vcc_lo, 0, v17, vcc_lo
	v_cmp_ne_u32_e64 s1, v20, v22
	v_cmp_ne_u32_e32 vcc_lo, 0, v6
	v_and_or_b32 v2, 0x1ff, v3, v2
	s_delay_alu instid0(VALU_DEP_3) | instskip(SKIP_3) | instid1(VALU_DEP_4)
	v_cndmask_b32_e64 v20, 0, 1, s1
	v_cndmask_b32_e64 v6, 0, 1, vcc_lo
	v_cmp_gt_i32_e32 vcc_lo, 31, v14
	v_lshrrev_b32_e32 v22, 8, v3
	v_or_b32_e32 v20, v24, v20
	s_delay_alu instid0(VALU_DEP_4) | instskip(SKIP_2) | instid1(VALU_DEP_4)
	v_lshl_or_b32 v6, v6, 9, 0x7c00
	v_cndmask_b32_e32 v17, 0x7c00, v17, vcc_lo
	v_cmp_gt_i32_e32 vcc_lo, 1, v19
	v_cndmask_b32_e32 v20, v21, v20, vcc_lo
	v_cmp_eq_u32_e32 vcc_lo, 0x40f, v14
	s_delay_alu instid0(VALU_DEP_2)
	v_dual_cndmask_b32 v14, v17, v6 :: v_dual_and_b32 v21, 7, v20
	v_lshrrev_b32_e32 v17, 16, v7
	v_cmp_ne_u32_e32 vcc_lo, 0, v2
	v_mul_f64 v[6:7], v[12:13], s[8:9]
	v_bfe_u32 v12, v3, 20, 11
	v_cmp_eq_u32_e64 s0, 3, v21
	v_and_or_b32 v13, 0x8000, v17, v14
	v_and_b32_e32 v14, 0xffff, v15
	v_cndmask_b32_e64 v2, 0, 1, vcc_lo
	v_cmp_lt_i32_e32 vcc_lo, 5, v21
	v_sub_nc_u32_e32 v15, 0x3f1, v12
	v_and_or_b32 v10, 0x1ff, v11, v10
	v_lshl_or_b32 v13, v13, 16, v14
	v_lshrrev_b32_e32 v14, 2, v20
	v_and_or_b32 v2, 0xffe, v22, v2
	s_or_b32 vcc_lo, s0, vcc_lo
	v_med3_i32 v15, v15, 0, 13
	v_lshrrev_b32_e32 v21, 8, v11
	v_add_co_ci_u32_e32 v14, vcc_lo, 0, v14, vcc_lo
	v_or_b32_e32 v17, 0x1000, v2
	v_cmp_ne_u32_e32 vcc_lo, 0, v8
	v_bfe_u32 v22, v11, 20, 11
	v_add_nc_u32_e32 v12, 0xfffffc10, v12
	v_lshrrev_b32_e32 v3, 16, v3
	v_lshrrev_b32_e32 v20, v15, v17
	v_cndmask_b32_e64 v8, 0, 1, vcc_lo
	v_cmp_gt_i32_e32 vcc_lo, 31, v19
	v_lshrrev_b32_e32 v11, 16, v11
	s_delay_alu instid0(VALU_DEP_4) | instskip(NEXT) | instid1(VALU_DEP_4)
	v_lshlrev_b32_e32 v15, v15, v20
	v_lshl_or_b32 v8, v8, 9, 0x7c00
	v_cndmask_b32_e32 v14, 0x7c00, v14, vcc_lo
	v_cmp_ne_u32_e32 vcc_lo, 0, v10
	v_cndmask_b32_e64 v10, 0, 1, vcc_lo
	v_cmp_ne_u32_e32 vcc_lo, v15, v17
	v_sub_nc_u32_e32 v17, 0x3f1, v22
	v_and_or_b32 v6, 0x1ff, v7, v6
	s_delay_alu instid0(VALU_DEP_4)
	v_and_or_b32 v10, 0xffe, v21, v10
	v_cndmask_b32_e64 v15, 0, 1, vcc_lo
	v_cmp_eq_u32_e32 vcc_lo, 0x40f, v19
	v_med3_i32 v17, v17, 0, 13
	v_bfe_u32 v21, v7, 20, 11
	v_or_b32_e32 v19, 0x1000, v10
	v_cndmask_b32_e32 v8, v14, v8, vcc_lo
	v_or_b32_e32 v14, v20, v15
	v_lshl_or_b32 v15, v12, 12, v2
	v_cmp_gt_i32_e32 vcc_lo, 1, v12
	v_lshrrev_b32_e32 v20, 8, v7
	v_lshrrev_b32_e32 v7, 16, v7
	s_delay_alu instid0(VALU_DEP_4) | instskip(SKIP_2) | instid1(VALU_DEP_2)
	v_cndmask_b32_e32 v14, v15, v14, vcc_lo
	v_lshrrev_b32_e32 v15, v17, v19
	v_cmp_ne_u32_e32 vcc_lo, 0, v6
	v_lshlrev_b32_e32 v17, v17, v15
	v_cndmask_b32_e64 v6, 0, 1, vcc_lo
	v_and_or_b32 v8, 0x8000, v9, v8
	v_sub_nc_u32_e32 v9, 0x3f1, v21
	s_delay_alu instid0(VALU_DEP_4) | instskip(NEXT) | instid1(VALU_DEP_4)
	v_cmp_ne_u32_e64 s0, v17, v19
	v_and_or_b32 v6, 0xffe, v20, v6
	v_add_nc_u32_e32 v20, 0xfffffc10, v22
	s_delay_alu instid0(VALU_DEP_4) | instskip(SKIP_4) | instid1(VALU_DEP_3)
	v_med3_i32 v9, v9, 0, 13
	v_and_b32_e32 v8, 0xffff, v8
	v_cndmask_b32_e64 v17, 0, 1, s0
	v_or_b32_e32 v19, 0x1000, v6
	v_lshl_or_b32 v22, v20, 12, v10
	v_or_b32_e32 v15, v15, v17
	s_delay_alu instid0(VALU_DEP_3) | instskip(NEXT) | instid1(VALU_DEP_1)
	v_lshrrev_b32_e32 v17, v9, v19
	v_lshlrev_b32_e32 v9, v9, v17
	v_and_b32_e32 v23, 7, v14
	v_lshrrev_b32_e32 v14, 2, v14
	s_delay_alu instid0(VALU_DEP_2) | instskip(SKIP_1) | instid1(VALU_DEP_1)
	v_cmp_lt_i32_e32 vcc_lo, 5, v23
	v_cmp_eq_u32_e64 s0, 3, v23
	s_or_b32 vcc_lo, s0, vcc_lo
	s_delay_alu instid0(VALU_DEP_3)
	v_add_co_ci_u32_e32 v14, vcc_lo, 0, v14, vcc_lo
	v_cmp_gt_i32_e32 vcc_lo, 1, v20
	v_cndmask_b32_e32 v15, v22, v15, vcc_lo
	v_cmp_ne_u32_e32 vcc_lo, 0, v2
	v_cndmask_b32_e64 v2, 0, 1, vcc_lo
	v_cmp_ne_u32_e32 vcc_lo, v9, v19
	v_add_nc_u32_e32 v19, 0xfffffc10, v21
	s_delay_alu instid0(VALU_DEP_3) | instskip(SKIP_4) | instid1(VALU_DEP_4)
	v_lshl_or_b32 v2, v2, 9, 0x7c00
	v_cndmask_b32_e64 v9, 0, 1, vcc_lo
	v_cmp_gt_i32_e32 vcc_lo, 31, v12
	v_and_b32_e32 v21, 7, v15
	v_cmp_gt_i32_e64 s1, 1, v19
	v_or_b32_e32 v9, v17, v9
	v_cndmask_b32_e32 v14, 0x7c00, v14, vcc_lo
	v_lshl_or_b32 v17, v19, 12, v6
	v_cmp_lt_i32_e32 vcc_lo, 5, v21
	v_cmp_eq_u32_e64 s0, 3, v21
	s_delay_alu instid0(VALU_DEP_3) | instskip(SKIP_2) | instid1(VALU_DEP_4)
	v_cndmask_b32_e64 v9, v17, v9, s1
	v_cmp_eq_u32_e64 s1, 0x40f, v12
	v_lshrrev_b32_e32 v12, 2, v15
	s_or_b32 vcc_lo, s0, vcc_lo
	s_delay_alu instid0(VALU_DEP_2) | instskip(NEXT) | instid1(VALU_DEP_2)
	v_cndmask_b32_e64 v2, v14, v2, s1
	v_add_co_ci_u32_e32 v12, vcc_lo, 0, v12, vcc_lo
	v_and_b32_e32 v14, 7, v9
	v_cmp_ne_u32_e32 vcc_lo, 0, v10
	v_lshrrev_b32_e32 v9, 2, v9
	v_cmp_gt_i32_e64 s1, 31, v20
	s_delay_alu instid0(VALU_DEP_4) | instskip(SKIP_2) | instid1(VALU_DEP_4)
	v_cmp_eq_u32_e64 s0, 3, v14
	v_cndmask_b32_e64 v10, 0, 1, vcc_lo
	v_cmp_lt_i32_e32 vcc_lo, 5, v14
	v_cndmask_b32_e64 v12, 0x7c00, v12, s1
	s_delay_alu instid0(VALU_DEP_3)
	v_lshl_or_b32 v10, v10, 9, 0x7c00
	s_or_b32 vcc_lo, s0, vcc_lo
	v_add_co_ci_u32_e32 v9, vcc_lo, 0, v9, vcc_lo
	v_cmp_ne_u32_e32 vcc_lo, 0, v6
	v_cndmask_b32_e64 v6, 0, 1, vcc_lo
	v_cmp_eq_u32_e32 vcc_lo, 0x40f, v20
	s_delay_alu instid0(VALU_DEP_2) | instskip(SKIP_3) | instid1(VALU_DEP_3)
	v_lshl_or_b32 v6, v6, 9, 0x7c00
	v_cndmask_b32_e32 v10, v12, v10, vcc_lo
	v_cmp_gt_i32_e32 vcc_lo, 31, v19
	v_and_or_b32 v12, 0x8000, v3, v2
	v_and_or_b32 v10, 0x8000, v11, v10
	v_cndmask_b32_e32 v9, 0x7c00, v9, vcc_lo
	v_cmp_eq_u32_e32 vcc_lo, 0x40f, v19
	s_delay_alu instid0(VALU_DEP_4) | instskip(NEXT) | instid1(VALU_DEP_3)
	v_lshl_or_b32 v11, v12, 16, v8
	v_cndmask_b32_e32 v6, v9, v6, vcc_lo
	v_add_co_u32 v2, vcc_lo, v4, s3
	v_add_co_ci_u32_e32 v3, vcc_lo, s2, v5, vcc_lo
	s_delay_alu instid0(VALU_DEP_3) | instskip(SKIP_1) | instid1(VALU_DEP_4)
	v_and_or_b32 v8, 0x8000, v7, v6
	v_and_b32_e32 v9, 0xffff, v10
	v_add_co_u32 v6, vcc_lo, v2, s3
	s_delay_alu instid0(VALU_DEP_4) | instskip(NEXT) | instid1(VALU_DEP_3)
	v_add_co_ci_u32_e32 v7, vcc_lo, s2, v3, vcc_lo
	v_lshl_or_b32 v10, v8, 16, v9
	s_delay_alu instid0(VALU_DEP_3) | instskip(NEXT) | instid1(VALU_DEP_3)
	v_add_co_u32 v8, vcc_lo, v6, s3
	v_add_co_ci_u32_e32 v9, vcc_lo, s2, v7, vcc_lo
	global_store_b32 v[0:1], v16, off
	global_store_b32 v[4:5], v18, off
	;; [unrolled: 1-line block ×5, first 2 shown]
.LBB0_18:
	s_nop 0
	s_sendmsg sendmsg(MSG_DEALLOC_VGPRS)
	s_endpgm
	.section	.rodata,"a",@progbits
	.p2align	6, 0x0
	.amdhsa_kernel bluestein_single_fwd_len2028_dim1_half_op_CI_CI
		.amdhsa_group_segment_fixed_size 8112
		.amdhsa_private_segment_fixed_size 0
		.amdhsa_kernarg_size 104
		.amdhsa_user_sgpr_count 15
		.amdhsa_user_sgpr_dispatch_ptr 0
		.amdhsa_user_sgpr_queue_ptr 0
		.amdhsa_user_sgpr_kernarg_segment_ptr 1
		.amdhsa_user_sgpr_dispatch_id 0
		.amdhsa_user_sgpr_private_segment_size 0
		.amdhsa_wavefront_size32 1
		.amdhsa_uses_dynamic_stack 0
		.amdhsa_enable_private_segment 0
		.amdhsa_system_sgpr_workgroup_id_x 1
		.amdhsa_system_sgpr_workgroup_id_y 0
		.amdhsa_system_sgpr_workgroup_id_z 0
		.amdhsa_system_sgpr_workgroup_info 0
		.amdhsa_system_vgpr_workitem_id 0
		.amdhsa_next_free_vgpr 213
		.amdhsa_next_free_sgpr 20
		.amdhsa_reserve_vcc 1
		.amdhsa_float_round_mode_32 0
		.amdhsa_float_round_mode_16_64 0
		.amdhsa_float_denorm_mode_32 3
		.amdhsa_float_denorm_mode_16_64 3
		.amdhsa_dx10_clamp 1
		.amdhsa_ieee_mode 1
		.amdhsa_fp16_overflow 0
		.amdhsa_workgroup_processor_mode 1
		.amdhsa_memory_ordered 1
		.amdhsa_forward_progress 0
		.amdhsa_shared_vgpr_count 0
		.amdhsa_exception_fp_ieee_invalid_op 0
		.amdhsa_exception_fp_denorm_src 0
		.amdhsa_exception_fp_ieee_div_zero 0
		.amdhsa_exception_fp_ieee_overflow 0
		.amdhsa_exception_fp_ieee_underflow 0
		.amdhsa_exception_fp_ieee_inexact 0
		.amdhsa_exception_int_div_zero 0
	.end_amdhsa_kernel
	.text
.Lfunc_end0:
	.size	bluestein_single_fwd_len2028_dim1_half_op_CI_CI, .Lfunc_end0-bluestein_single_fwd_len2028_dim1_half_op_CI_CI
                                        ; -- End function
	.section	.AMDGPU.csdata,"",@progbits
; Kernel info:
; codeLenInByte = 31372
; NumSgprs: 22
; NumVgprs: 213
; ScratchSize: 0
; MemoryBound: 0
; FloatMode: 240
; IeeeMode: 1
; LDSByteSize: 8112 bytes/workgroup (compile time only)
; SGPRBlocks: 2
; VGPRBlocks: 26
; NumSGPRsForWavesPerEU: 22
; NumVGPRsForWavesPerEU: 213
; Occupancy: 7
; WaveLimiterHint : 1
; COMPUTE_PGM_RSRC2:SCRATCH_EN: 0
; COMPUTE_PGM_RSRC2:USER_SGPR: 15
; COMPUTE_PGM_RSRC2:TRAP_HANDLER: 0
; COMPUTE_PGM_RSRC2:TGID_X_EN: 1
; COMPUTE_PGM_RSRC2:TGID_Y_EN: 0
; COMPUTE_PGM_RSRC2:TGID_Z_EN: 0
; COMPUTE_PGM_RSRC2:TIDIG_COMP_CNT: 0
	.text
	.p2alignl 7, 3214868480
	.fill 96, 4, 3214868480
	.type	__hip_cuid_769864c277ff081b,@object ; @__hip_cuid_769864c277ff081b
	.section	.bss,"aw",@nobits
	.globl	__hip_cuid_769864c277ff081b
__hip_cuid_769864c277ff081b:
	.byte	0                               ; 0x0
	.size	__hip_cuid_769864c277ff081b, 1

	.ident	"AMD clang version 19.0.0git (https://github.com/RadeonOpenCompute/llvm-project roc-6.4.0 25133 c7fe45cf4b819c5991fe208aaa96edf142730f1d)"
	.section	".note.GNU-stack","",@progbits
	.addrsig
	.addrsig_sym __hip_cuid_769864c277ff081b
	.amdgpu_metadata
---
amdhsa.kernels:
  - .args:
      - .actual_access:  read_only
        .address_space:  global
        .offset:         0
        .size:           8
        .value_kind:     global_buffer
      - .actual_access:  read_only
        .address_space:  global
        .offset:         8
        .size:           8
        .value_kind:     global_buffer
      - .actual_access:  read_only
        .address_space:  global
        .offset:         16
        .size:           8
        .value_kind:     global_buffer
      - .actual_access:  read_only
        .address_space:  global
        .offset:         24
        .size:           8
        .value_kind:     global_buffer
      - .actual_access:  read_only
        .address_space:  global
        .offset:         32
        .size:           8
        .value_kind:     global_buffer
      - .offset:         40
        .size:           8
        .value_kind:     by_value
      - .address_space:  global
        .offset:         48
        .size:           8
        .value_kind:     global_buffer
      - .address_space:  global
        .offset:         56
        .size:           8
        .value_kind:     global_buffer
      - .address_space:  global
        .offset:         64
        .size:           8
        .value_kind:     global_buffer
      - .address_space:  global
        .offset:         72
        .size:           8
        .value_kind:     global_buffer
      - .offset:         80
        .size:           4
        .value_kind:     by_value
      - .address_space:  global
        .offset:         88
        .size:           8
        .value_kind:     global_buffer
      - .address_space:  global
        .offset:         96
        .size:           8
        .value_kind:     global_buffer
    .group_segment_fixed_size: 8112
    .kernarg_segment_align: 8
    .kernarg_segment_size: 104
    .language:       OpenCL C
    .language_version:
      - 2
      - 0
    .max_flat_workgroup_size: 156
    .name:           bluestein_single_fwd_len2028_dim1_half_op_CI_CI
    .private_segment_fixed_size: 0
    .sgpr_count:     22
    .sgpr_spill_count: 0
    .symbol:         bluestein_single_fwd_len2028_dim1_half_op_CI_CI.kd
    .uniform_work_group_size: 1
    .uses_dynamic_stack: false
    .vgpr_count:     213
    .vgpr_spill_count: 0
    .wavefront_size: 32
    .workgroup_processor_mode: 1
amdhsa.target:   amdgcn-amd-amdhsa--gfx1100
amdhsa.version:
  - 1
  - 2
...

	.end_amdgpu_metadata
